;; amdgpu-corpus repo=ROCm/aiter kind=harvested arch=n/a opt=n/a

/root/src/amdgpu-assembly/repos/ROCm__aiter/hsa/gfx950/topksoftmax/topksoftmax_12x256x8_bf16.co:	file format elf64-amdgpu

Disassembly of section .text:

0000000000001c00 <_ZN5aiter25topksoftmax_12x256x8_bf16E>:
	s_and_b32 s1, s1, 0xffff                                   // 000000001C00: 8601FF01 0000FFFF
	s_load_dwordx2 s[4:5], s[0:1], 0x0                         // 000000001C08: C0060100 00000000
	s_load_dwordx2 s[8:9], s[0:1], 0x10                        // 000000001C10: C0060200 00000010
	s_load_dwordx2 s[12:13], s[0:1], 0x20                      // 000000001C18: C0060300 00000020
	s_load_dword s16, s[0:1], 0x30                             // 000000001C20: C0020400 00000030
	s_load_dword s17, s[0:1], 0x40                             // 000000001C28: C0020440 00000040
	s_load_dword s18, s[0:1], 0x50                             // 000000001C30: C0020480 00000050
	s_load_dword s98, s[0:1], 0x60                             // 000000001C38: C0021880 00000060
	s_load_dword s99, s[0:1], 0x70                             // 000000001C40: C00218C0 00000070
	v_lshrrev_b32_e32 v1, 10, v0                               // 000000001C48: 2002008A
	v_lshrrev_b32_e32 v2, 10, v1                               // 000000001C4C: 2004028A
	v_and_b32_e32 v2, 0x3ff, v2                                // 000000001C50: 260404FF 000003FF
	v_and_b32_e32 v1, 0x3ff, v1                                // 000000001C58: 260202FF 000003FF
	v_and_b32_e32 v0, 0x3ff, v0                                // 000000001C60: 260000FF 000003FF
	v_lshrrev_b32_e32 v3, 6, v0                                // 000000001C68: 20060086
	v_and_b32_e32 v0, 63, v0                                   // 000000001C6C: 260000BF
	s_mov_b32 s19, s2                                          // 000000001C70: BE930002
	v_readfirstlane_b32 s96, v3                                // 000000001C74: 7EC00503
	s_waitcnt lgkmcnt(0)                                       // 000000001C78: BF8CC07F
	s_mov_b32 s6, -16                                          // 000000001C7C: BE8600D0
	s_mov_b32 s10, -16                                         // 000000001C80: BE8A00D0
	s_mov_b32 s14, -16                                         // 000000001C84: BE8E00D0
	s_mov_b32 s7, 0x20000                                      // 000000001C88: BE8700FF 00020000
	s_mov_b32 s11, 0x20000                                     // 000000001C90: BE8B00FF 00020000
	s_mov_b32 s15, 0x20000                                     // 000000001C98: BE8F00FF 00020000
	s_and_b32 s5, s5, 0xffff                                   // 000000001CA0: 8605FF05 0000FFFF
	s_and_b32 s9, s9, 0xffff                                   // 000000001CA8: 8609FF09 0000FFFF
	s_and_b32 s13, s13, 0xffff                                 // 000000001CB0: 860DFF0D 0000FFFF
	s_or_b32 s5, s5, 0x40000                                   // 000000001CB8: 8705FF05 00040000
	s_or_b32 s9, s9, 0x40000                                   // 000000001CC0: 8709FF09 00040000
	s_or_b32 s13, s13, 0x40000                                 // 000000001CC8: 870DFF0D 00040000
	s_mul_i32 s20, s16, s17                                    // 000000001CD0: 92141110
	s_mul_i32 s20, s20, 2                                      // 000000001CD4: 92148214
	s_mov_b32 s14, s20                                         // 000000001CD8: BE8E0014
	v_lshlrev_b32_e32 v8, 1, v0                                // 000000001CDC: 24100081
	s_mul_i32 s20, s17, 2                                      // 000000001CE0: 92148211
	s_mul_i32 s21, s19, 12                                     // 000000001CE4: 92158C13
	s_add_i32 s21, s21, s96                                    // 000000001CE8: 81156015
	s_mul_i32 s22, s20, s21                                    // 000000001CEC: 92161514
	v_add_u32_e32 v8, s22, v8                                  // 000000001CF0: 68101016
	s_mul_i32 s23, s20, 4                                      // 000000001CF4: 92178414
	v_add_u32_e32 v9, s23, v8                                  // 000000001CF8: 68121017
	v_add_u32_e32 v10, s23, v9                                 // 000000001CFC: 68141217
	buffer_load_short_d16 v17, v8, s[12:15], 0 offen           // 000000001D00: E0901000 80031108
	buffer_load_short_d16 v18, v8, s[12:15], 0 offen offset:128// 000000001D08: E0901080 80031208
	buffer_load_short_d16 v19, v8, s[12:15], 0 offen offset:256// 000000001D10: E0901100 80031308
	buffer_load_short_d16 v20, v8, s[12:15], 0 offen offset:384// 000000001D18: E0901180 80031408
	buffer_load_short_d16 v21, v9, s[12:15], 0 offen           // 000000001D20: E0901000 80031509
	buffer_load_short_d16 v22, v9, s[12:15], 0 offen offset:128// 000000001D28: E0901080 80031609
	buffer_load_short_d16 v23, v9, s[12:15], 0 offen offset:256// 000000001D30: E0901100 80031709
	buffer_load_short_d16 v24, v9, s[12:15], 0 offen offset:384// 000000001D38: E0901180 80031809
	buffer_load_short_d16 v25, v10, s[12:15], 0 offen          // 000000001D40: E0901000 8003190A
	buffer_load_short_d16 v26, v10, s[12:15], 0 offen offset:128// 000000001D48: E0901080 80031A0A
	buffer_load_short_d16 v27, v10, s[12:15], 0 offen offset:256// 000000001D50: E0901100 80031B0A
	buffer_load_short_d16 v28, v10, s[12:15], 0 offen offset:384// 000000001D58: E0901180 80031C0A
	v_mov_b32_e32 v35, 0                                       // 000000001D60: 7E460280
	v_mov_b32_e32 v36, 0                                       // 000000001D64: 7E480280
	v_mov_b32_e32 v37, 0                                       // 000000001D68: 7E4A0280
	v_mov_b32_e32 v38, 0                                       // 000000001D6C: 7E4C0280
	v_mov_b32_e32 v39, 0                                       // 000000001D70: 7E4E0280
	v_mov_b32_e32 v40, 0                                       // 000000001D74: 7E500280
	v_mov_b32_e32 v41, 0                                       // 000000001D78: 7E520280
	v_mov_b32_e32 v42, 0                                       // 000000001D7C: 7E540280
	v_mov_b32_e32 v43, 0                                       // 000000001D80: 7E560280
	v_mov_b32_e32 v44, 0                                       // 000000001D84: 7E580280
	v_mov_b32_e32 v45, 0                                       // 000000001D88: 7E5A0280
	v_mov_b32_e32 v46, 0                                       // 000000001D8C: 7E5C0280
	v_mov_b32_e32 v29, 0                                       // 000000001D90: 7E3A0280
	v_mov_b32_e32 v30, 0                                       // 000000001D94: 7E3C0280
	v_mov_b32_e32 v31, 0                                       // 000000001D98: 7E3E0280
	v_mov_b32_e32 v32, 0                                       // 000000001D9C: 7E400280
	v_mov_b32_e32 v33, 0                                       // 000000001DA0: 7E420280
	v_mov_b32_e32 v34, 0                                       // 000000001DA4: 7E440280
	v_mov_b32_e32 v47, 0                                       // 000000001DA8: 7E5E0280
	v_mov_b32_e32 v48, 0                                       // 000000001DAC: 7E600280
	v_mov_b32_e32 v49, 0                                       // 000000001DB0: 7E620280
	s_mov_b32 s18, 8                                           // 000000001DB4: BE920088
	v_lshlrev_b32_e32 v11, 2, v0                               // 000000001DB8: 24160082
	s_mov_b32 s20, s99                                         // 000000001DBC: BE940063
	s_mul_i32 s21, s19, 12                                     // 000000001DC0: 92158C13
	s_add_i32 s21, s21, s96                                    // 000000001DC4: 81156015
	s_mul_i32 s22, s20, s21                                    // 000000001DC8: 92161514
	v_add_u32_e32 v11, s22, v11                                // 000000001DCC: 68161616
	s_mul_i32 s23, s20, 4                                      // 000000001DD0: 92178414
	v_add_u32_e32 v12, s23, v11                                // 000000001DD4: 68181617
	v_add_u32_e32 v13, s23, v12                                // 000000001DD8: 681A1817
	v_mov_b32_e32 v14, v11                                     // 000000001DDC: 7E1C030B
	v_mov_b32_e32 v15, v12                                     // 000000001DE0: 7E1E030C
	v_mov_b32_e32 v16, v13                                     // 000000001DE4: 7E20030D
	s_mul_i32 s20, s16, s99                                    // 000000001DE8: 92146310
	s_mov_b32 s6, s20                                          // 000000001DEC: BE860014
	s_mov_b32 s10, s20                                         // 000000001DF0: BE8A0014
	s_mov_b32 s97, 0x3fb8aa3b                                  // 000000001DF4: BEE100FF 3FB8AA3B
	s_mov_b32 s72, 0                                           // 000000001DFC: BEC80080
	s_mov_b32 s73, 0                                           // 000000001E00: BEC90080
	s_mov_b32 s74, 0                                           // 000000001E04: BECA0080
	s_mov_b32 s75, 0                                           // 000000001E08: BECB0080
	s_mov_b32 s76, 0                                           // 000000001E0C: BECC0080
	s_mov_b32 s77, 0                                           // 000000001E10: BECD0080
	s_mov_b32 s78, 0                                           // 000000001E14: BECE0080
	s_mov_b32 s79, 0                                           // 000000001E18: BECF0080
	s_mov_b32 s80, 0                                           // 000000001E1C: BED00080
	s_mov_b32 s81, 0                                           // 000000001E20: BED10080
	s_mov_b32 s82, 0                                           // 000000001E24: BED20080
	s_mov_b32 s83, 0                                           // 000000001E28: BED30080
	s_mov_b32 s84, 0                                           // 000000001E2C: BED40080
	s_mov_b32 s85, 0                                           // 000000001E30: BED50080
	s_mov_b32 s86, 0                                           // 000000001E34: BED60080
	s_mov_b32 s87, 0                                           // 000000001E38: BED70080
	s_mov_b32 s88, 0                                           // 000000001E3C: BED80080
	s_mov_b32 s89, 0                                           // 000000001E40: BED90080
	s_mov_b32 s90, 0                                           // 000000001E44: BEDA0080
	s_mov_b32 s91, 0                                           // 000000001E48: BEDB0080
	s_mov_b32 s92, 0                                           // 000000001E4C: BEDC0080
	s_mov_b32 s93, 0                                           // 000000001E50: BEDD0080
	s_mov_b32 s94, 0                                           // 000000001E54: BEDE0080
	s_mov_b32 s95, 0                                           // 000000001E58: BEDF0080
	s_waitcnt vmcnt(0) expcnt(0) lgkmcnt(0)                    // 000000001E5C: BF8C0000
	v_lshlrev_b32_e32 v17, 16, v17                             // 000000001E60: 24222290
	v_lshlrev_b32_e32 v18, 16, v18                             // 000000001E64: 24242490
	v_lshlrev_b32_e32 v19, 16, v19                             // 000000001E68: 24262690
	v_lshlrev_b32_e32 v20, 16, v20                             // 000000001E6C: 24282890
	v_lshlrev_b32_e32 v21, 16, v21                             // 000000001E70: 242A2A90
	v_lshlrev_b32_e32 v22, 16, v22                             // 000000001E74: 242C2C90
	v_lshlrev_b32_e32 v23, 16, v23                             // 000000001E78: 242E2E90
	v_lshlrev_b32_e32 v24, 16, v24                             // 000000001E7C: 24303090
	v_lshlrev_b32_e32 v25, 16, v25                             // 000000001E80: 24323290
	v_lshlrev_b32_e32 v26, 16, v26                             // 000000001E84: 24343490
	v_lshlrev_b32_e32 v27, 16, v27                             // 000000001E88: 24363690
	v_lshlrev_b32_e32 v28, 16, v28                             // 000000001E8C: 24383890
	v_mul_f32_e64 v17, v17, s97                                // 000000001E90: D1050011 0000C311
	v_exp_f32_e32 v17, v17                                     // 000000001E98: 7E224111
	v_mul_f32_e64 v18, v18, s97                                // 000000001E9C: D1050012 0000C312
	v_exp_f32_e32 v18, v18                                     // 000000001EA4: 7E244112
	v_mul_f32_e64 v19, v19, s97                                // 000000001EA8: D1050013 0000C313
	v_exp_f32_e32 v19, v19                                     // 000000001EB0: 7E264113
	v_mul_f32_e64 v20, v20, s97                                // 000000001EB4: D1050014 0000C314
	v_exp_f32_e32 v20, v20                                     // 000000001EBC: 7E284114
	v_mul_f32_e64 v21, v21, s97                                // 000000001EC0: D1050015 0000C315
	v_exp_f32_e32 v21, v21                                     // 000000001EC8: 7E2A4115
	v_mul_f32_e64 v22, v22, s97                                // 000000001ECC: D1050016 0000C316
	v_exp_f32_e32 v22, v22                                     // 000000001ED4: 7E2C4116
	v_mul_f32_e64 v23, v23, s97                                // 000000001ED8: D1050017 0000C317
	v_exp_f32_e32 v23, v23                                     // 000000001EE0: 7E2E4117
	v_mul_f32_e64 v24, v24, s97                                // 000000001EE4: D1050018 0000C318
	v_exp_f32_e32 v24, v24                                     // 000000001EEC: 7E304118
	v_mul_f32_e64 v25, v25, s97                                // 000000001EF0: D1050019 0000C319
	v_exp_f32_e32 v25, v25                                     // 000000001EF8: 7E324119
	v_mul_f32_e64 v26, v26, s97                                // 000000001EFC: D105001A 0000C31A
	v_exp_f32_e32 v26, v26                                     // 000000001F04: 7E34411A
	v_mul_f32_e64 v27, v27, s97                                // 000000001F08: D105001B 0000C31B
	v_exp_f32_e32 v27, v27                                     // 000000001F10: 7E36411B
	v_mul_f32_e64 v28, v28, s97                                // 000000001F14: D105001C 0000C31C
	v_exp_f32_e32 v28, v28                                     // 000000001F1C: 7E38411C
	v_add_f32_e32 v35, v35, v17                                // 000000001F20: 02462323
	v_add_f32_e32 v35, v35, v18                                // 000000001F24: 02462523
	v_add_f32_e32 v35, v35, v19                                // 000000001F28: 02462723
	v_add_f32_e32 v35, v35, v20                                // 000000001F2C: 02462923
	v_add_f32_e32 v37, v37, v21                                // 000000001F30: 024A2B25
	v_add_f32_e32 v37, v37, v22                                // 000000001F34: 024A2D25
	v_add_f32_e32 v37, v37, v23                                // 000000001F38: 024A2F25
	v_add_f32_e32 v37, v37, v24                                // 000000001F3C: 024A3125
	v_add_f32_e32 v39, v39, v25                                // 000000001F40: 024E3327
	v_add_f32_e32 v39, v39, v26                                // 000000001F44: 024E3527
	v_add_f32_e32 v39, v39, v27                                // 000000001F48: 024E3727
	v_add_f32_e32 v39, v39, v28                                // 000000001F4C: 024E3927
	v_add_f32_dpp v4, v35, v35 quad_perm:[1,0,3,2] row_mask:0xf bank_mask:0xf// 000000001F50: 020846FA FF00B123
	v_add_f32_dpp v5, v37, v37 quad_perm:[1,0,3,2] row_mask:0xf bank_mask:0xf// 000000001F58: 020A4AFA FF00B125
	v_add_f32_dpp v6, v39, v39 quad_perm:[1,0,3,2] row_mask:0xf bank_mask:0xf// 000000001F60: 020C4EFA FF00B127
	v_add_f32_dpp v4, v4, v4 quad_perm:[2,3,0,1] row_mask:0xf bank_mask:0xf// 000000001F68: 020808FA FF004E04
	v_add_f32_dpp v5, v5, v5 quad_perm:[2,3,0,1] row_mask:0xf bank_mask:0xf// 000000001F70: 020A0AFA FF004E05
	v_add_f32_dpp v6, v6, v6 quad_perm:[2,3,0,1] row_mask:0xf bank_mask:0xf// 000000001F78: 020C0CFA FF004E06
	v_add_f32_dpp v4, v4, v4 row_shr:4 row_mask:0xf bank_mask:0xf// 000000001F80: 020808FA FF011404
	v_add_f32_dpp v5, v5, v5 row_shr:4 row_mask:0xf bank_mask:0xf// 000000001F88: 020A0AFA FF011405
	v_add_f32_dpp v6, v6, v6 row_shr:4 row_mask:0xf bank_mask:0xf// 000000001F90: 020C0CFA FF011406
	v_add_f32_dpp v4, v4, v4 row_shr:8 row_mask:0xf bank_mask:0xf// 000000001F98: 020808FA FF011804
	v_add_f32_dpp v5, v5, v5 row_shr:8 row_mask:0xf bank_mask:0xf// 000000001FA0: 020A0AFA FF011805
	v_add_f32_dpp v6, v6, v6 row_shr:8 row_mask:0xf bank_mask:0xf// 000000001FA8: 020C0CFA FF011806
	v_add_f32_dpp v4, v4, v4 row_bcast:15 row_mask:0xf bank_mask:0xf// 000000001FB0: 020808FA FF014204
	v_add_f32_dpp v5, v5, v5 row_bcast:15 row_mask:0xf bank_mask:0xf// 000000001FB8: 020A0AFA FF014205
	v_add_f32_dpp v6, v6, v6 row_bcast:15 row_mask:0xf bank_mask:0xf// 000000001FC0: 020C0CFA FF014206
	v_add_f32_dpp v4, v4, v4 row_bcast:31 row_mask:0xf bank_mask:0xf// 000000001FC8: 020808FA FF014304
	v_add_f32_dpp v5, v5, v5 row_bcast:31 row_mask:0xf bank_mask:0xf// 000000001FD0: 020A0AFA FF014305
	v_add_f32_dpp v6, v6, v6 row_bcast:31 row_mask:0xf bank_mask:0xf// 000000001FD8: 020C0CFA FF014306
	v_readlane_b32 s20, v4, 63                                 // 000000001FE0: D2890014 00017F04
	v_mov_b32_e32 v36, s20                                     // 000000001FE8: 7E480214
	v_readlane_b32 s21, v5, 63                                 // 000000001FEC: D2890015 00017F05
	v_mov_b32_e32 v38, s21                                     // 000000001FF4: 7E4C0215
	v_readlane_b32 s22, v6, 63                                 // 000000001FF8: D2890016 00017F06
	v_mov_b32_e32 v40, s22                                     // 000000002000: 7E500216
	v_rcp_f32_e32 v35, v36                                     // 000000002004: 7E464524
	v_rcp_f32_e32 v37, v38                                     // 000000002008: 7E4A4526
	v_rcp_f32_e32 v39, v40                                     // 00000000200C: 7E4E4528
	v_mul_f32_e32 v17, v17, v35                                // 000000002010: 0A224711
	v_mul_f32_e32 v18, v18, v35                                // 000000002014: 0A244712
	v_mul_f32_e32 v19, v19, v35                                // 000000002018: 0A264713
	v_mul_f32_e32 v20, v20, v35                                // 00000000201C: 0A284714
	v_mul_f32_e32 v21, v21, v37                                // 000000002020: 0A2A4B15
	v_mul_f32_e32 v22, v22, v37                                // 000000002024: 0A2C4B16
	v_mul_f32_e32 v23, v23, v37                                // 000000002028: 0A2E4B17
	v_mul_f32_e32 v24, v24, v37                                // 00000000202C: 0A304B18
	v_mul_f32_e32 v25, v25, v39                                // 000000002030: 0A324F19
	v_mul_f32_e32 v26, v26, v39                                // 000000002034: 0A344F1A
	v_mul_f32_e32 v27, v27, v39                                // 000000002038: 0A364F1B
	v_mul_f32_e32 v28, v28, v39                                // 00000000203C: 0A384F1C
	s_cmp_eq_u32 s98, 0                                        // 000000002040: BF068062
	s_cbranch_scc0 label_06F0                                  // 000000002044: BF8405DE
	v_max_f32_e32 v41, v17, v18                                // 000000002048: 16522511
	v_max3_f32 v41, v41, v19, v20                              // 00000000204C: D1D30029 04522729
	v_max_f32_e32 v42, v21, v22                                // 000000002054: 16542D15
	v_max3_f32 v42, v42, v23, v24                              // 000000002058: D1D3002A 04622F2A
	v_max_f32_e32 v43, v25, v26                                // 000000002060: 16563519
	v_max3_f32 v43, v43, v27, v28                              // 000000002064: D1D3002B 0472372B
	v_max_f32_dpp v4, v41, v41 quad_perm:[1,0,3,2] row_mask:0xf bank_mask:0xf// 00000000206C: 160852FA FF00B129
	v_max_f32_dpp v5, v42, v42 quad_perm:[1,0,3,2] row_mask:0xf bank_mask:0xf// 000000002074: 160A54FA FF00B12A
	v_max_f32_dpp v6, v43, v43 quad_perm:[1,0,3,2] row_mask:0xf bank_mask:0xf// 00000000207C: 160C56FA FF00B12B
	v_max_f32_dpp v4, v4, v4 quad_perm:[2,3,0,1] row_mask:0xf bank_mask:0xf// 000000002084: 160808FA FF004E04
	v_max_f32_dpp v5, v5, v5 quad_perm:[2,3,0,1] row_mask:0xf bank_mask:0xf// 00000000208C: 160A0AFA FF004E05
	v_max_f32_dpp v6, v6, v6 quad_perm:[2,3,0,1] row_mask:0xf bank_mask:0xf// 000000002094: 160C0CFA FF004E06
	v_max_f32_dpp v4, v4, v4 row_shr:4 row_mask:0xf bank_mask:0xf// 00000000209C: 160808FA FF011404
	v_max_f32_dpp v5, v5, v5 row_shr:4 row_mask:0xf bank_mask:0xf// 0000000020A4: 160A0AFA FF011405
	v_max_f32_dpp v6, v6, v6 row_shr:4 row_mask:0xf bank_mask:0xf// 0000000020AC: 160C0CFA FF011406
	v_max_f32_dpp v4, v4, v4 row_shr:8 row_mask:0xf bank_mask:0xf// 0000000020B4: 160808FA FF011804
	v_max_f32_dpp v5, v5, v5 row_shr:8 row_mask:0xf bank_mask:0xf// 0000000020BC: 160A0AFA FF011805
	v_max_f32_dpp v6, v6, v6 row_shr:8 row_mask:0xf bank_mask:0xf// 0000000020C4: 160C0CFA FF011806
	v_max_f32_dpp v4, v4, v4 row_bcast:15 row_mask:0xf bank_mask:0xf// 0000000020CC: 160808FA FF014204
	v_max_f32_dpp v5, v5, v5 row_bcast:15 row_mask:0xf bank_mask:0xf// 0000000020D4: 160A0AFA FF014205
	v_max_f32_dpp v6, v6, v6 row_bcast:15 row_mask:0xf bank_mask:0xf// 0000000020DC: 160C0CFA FF014206
	v_max_f32_dpp v4, v4, v4 row_bcast:31 row_mask:0xf bank_mask:0xf// 0000000020E4: 160808FA FF014304
	v_max_f32_dpp v5, v5, v5 row_bcast:31 row_mask:0xf bank_mask:0xf// 0000000020EC: 160A0AFA FF014305
	v_max_f32_dpp v6, v6, v6 row_bcast:31 row_mask:0xf bank_mask:0xf// 0000000020F4: 160C0CFA FF014306
	v_readlane_b32 s20, v4, 63                                 // 0000000020FC: D2890014 00017F04
	v_mov_b32_e32 v41, s20                                     // 000000002104: 7E520214
	v_readlane_b32 s21, v5, 63                                 // 000000002108: D2890015 00017F05
	v_mov_b32_e32 v42, s21                                     // 000000002110: 7E540215
	v_readlane_b32 s22, v6, 63                                 // 000000002114: D2890016 00017F06
	v_mov_b32_e32 v43, s22                                     // 00000000211C: 7E560216
	v_cmp_eq_f32_e64 s[24:25], v41, v17                        // 000000002120: D0420018 00022329
	v_cmp_eq_f32_e64 s[26:27], v41, v18                        // 000000002128: D042001A 00022529
	v_cmp_eq_f32_e64 s[28:29], v41, v19                        // 000000002130: D042001C 00022729
	v_cmp_eq_f32_e64 s[30:31], v41, v20                        // 000000002138: D042001E 00022929
	s_ff1_i32_b64 s48, s[24:25]                                // 000000002140: BEB01118
	s_ff1_i32_b64 s49, s[26:27]                                // 000000002144: BEB1111A
	s_ff1_i32_b64 s50, s[28:29]                                // 000000002148: BEB2111C
	s_ff1_i32_b64 s51, s[30:31]                                // 00000000214C: BEB3111E
	v_cmp_eq_f32_e64 s[32:33], v42, v21                        // 000000002150: D0420020 00022B2A
	v_cmp_eq_f32_e64 s[34:35], v42, v22                        // 000000002158: D0420022 00022D2A
	v_cmp_eq_f32_e64 s[36:37], v42, v23                        // 000000002160: D0420024 00022F2A
	v_cmp_eq_f32_e64 s[38:39], v42, v24                        // 000000002168: D0420026 0002312A
	s_ff1_i32_b64 s52, s[32:33]                                // 000000002170: BEB41120
	s_ff1_i32_b64 s53, s[34:35]                                // 000000002174: BEB51122
	s_ff1_i32_b64 s54, s[36:37]                                // 000000002178: BEB61124
	s_ff1_i32_b64 s55, s[38:39]                                // 00000000217C: BEB71126
	v_cmp_eq_f32_e64 s[40:41], v43, v25                        // 000000002180: D0420028 0002332B
	v_cmp_eq_f32_e64 s[42:43], v43, v26                        // 000000002188: D042002A 0002352B
	v_cmp_eq_f32_e64 s[44:45], v43, v27                        // 000000002190: D042002C 0002372B
	v_cmp_eq_f32_e64 s[46:47], v43, v28                        // 000000002198: D042002E 0002392B
	s_ff1_i32_b64 s56, s[40:41]                                // 0000000021A0: BEB81128
	s_ff1_i32_b64 s57, s[42:43]                                // 0000000021A4: BEB9112A
	s_ff1_i32_b64 s58, s[44:45]                                // 0000000021A8: BEBA112C
	s_ff1_i32_b64 s59, s[46:47]                                // 0000000021AC: BEBB112E
	v_readlane_b32 s20, v41, 0                                 // 0000000021B0: D2890014 00010129
	v_writelane_b32 v32, s20, 0                                // 0000000021B8: D28A0020 00010014
	v_readlane_b32 s21, v42, 0                                 // 0000000021C0: D2890015 0001012A
	v_writelane_b32 v33, s21, 0                                // 0000000021C8: D28A0021 00010015
	v_readlane_b32 s22, v43, 0                                 // 0000000021D0: D2890016 0001012B
	v_writelane_b32 v34, s22, 0                                // 0000000021D8: D28A0022 00010016
	s_mov_b32 s22, s48                                         // 0000000021E0: BE960030
	s_cmp_eq_u32 s48, -1                                       // 0000000021E4: BF06C130
	s_cselect_b32 s21, 1, 0                                    // 0000000021E8: 85158081
	s_cbranch_scc0 label_018C                                  // 0000000021EC: BF840010
	s_add_u32 s72, s21, s72                                    // 0000000021F0: 80484815
	s_mov_b32 s22, s49                                         // 0000000021F4: BE960031
	s_cmp_eq_u32 s49, -1                                       // 0000000021F8: BF06C131
	s_cselect_b32 s21, 1, 0                                    // 0000000021FC: 85158081
	s_cbranch_scc0 label_018C                                  // 000000002200: BF84000B
	s_add_u32 s72, s21, s72                                    // 000000002204: 80484815
	s_mov_b32 s22, s50                                         // 000000002208: BE960032
	s_cmp_eq_u32 s50, -1                                       // 00000000220C: BF06C132
	s_cselect_b32 s21, 1, 0                                    // 000000002210: 85158081
	s_cbranch_scc0 label_018C                                  // 000000002214: BF840006
	s_add_u32 s72, s21, s72                                    // 000000002218: 80484815
	s_mov_b32 s22, s51                                         // 00000000221C: BE960033
	s_cmp_eq_u32 s51, -1                                       // 000000002220: BF06C133
	s_cselect_b32 s21, 1, 0                                    // 000000002224: 85158081
	s_cbranch_scc0 label_018C                                  // 000000002228: BF840001
	s_add_u32 s72, s21, s72                                    // 00000000222C: 80484815

0000000000002230 <label_018C>:
	s_set_gpr_idx_on s72, gpr_idx(DST)                         // 000000002230: BF110848
	v_writelane_b32 v17, 0, s22                                // 000000002234: D28A0011 00002C80
	s_set_gpr_idx_off                                          // 00000000223C: BF9C0000
	s_mul_i32 s72, 64, s72                                     // 000000002240: 924848C0
	s_add_u32 s72, s22, s72                                    // 000000002244: 80484816
	v_writelane_b32 v29, s72, 0                                // 000000002248: D28A001D 00010048
	s_mov_b32 s22, s52                                         // 000000002250: BE960034
	s_cmp_eq_u32 s52, -1                                       // 000000002254: BF06C134
	s_cselect_b32 s21, 1, 0                                    // 000000002258: 85158081
	s_cbranch_scc0 label_01A8                                  // 00000000225C: BF840010
	s_add_u32 s80, s21, s80                                    // 000000002260: 80505015
	s_mov_b32 s22, s53                                         // 000000002264: BE960035
	s_cmp_eq_u32 s53, -1                                       // 000000002268: BF06C135
	s_cselect_b32 s21, 1, 0                                    // 00000000226C: 85158081
	s_cbranch_scc0 label_01A8                                  // 000000002270: BF84000B
	s_add_u32 s80, s21, s80                                    // 000000002274: 80505015
	s_mov_b32 s22, s54                                         // 000000002278: BE960036
	s_cmp_eq_u32 s54, -1                                       // 00000000227C: BF06C136
	s_cselect_b32 s21, 1, 0                                    // 000000002280: 85158081
	s_cbranch_scc0 label_01A8                                  // 000000002284: BF840006
	s_add_u32 s80, s21, s80                                    // 000000002288: 80505015
	s_mov_b32 s22, s55                                         // 00000000228C: BE960037
	s_cmp_eq_u32 s55, -1                                       // 000000002290: BF06C137
	s_cselect_b32 s21, 1, 0                                    // 000000002294: 85158081
	s_cbranch_scc0 label_01A8                                  // 000000002298: BF840001
	s_add_u32 s80, s21, s80                                    // 00000000229C: 80505015

00000000000022a0 <label_01A8>:
	s_set_gpr_idx_on s80, gpr_idx(DST)                         // 0000000022A0: BF110850
	v_writelane_b32 v21, 0, s22                                // 0000000022A4: D28A0015 00002C80
	s_set_gpr_idx_off                                          // 0000000022AC: BF9C0000
	s_mul_i32 s80, 64, s80                                     // 0000000022B0: 925050C0
	s_add_u32 s80, s22, s80                                    // 0000000022B4: 80505016
	v_writelane_b32 v30, s80, 0                                // 0000000022B8: D28A001E 00010050
	s_mov_b32 s22, s56                                         // 0000000022C0: BE960038
	s_cmp_eq_u32 s56, -1                                       // 0000000022C4: BF06C138
	s_cselect_b32 s21, 1, 0                                    // 0000000022C8: 85158081
	s_cbranch_scc0 label_01C4                                  // 0000000022CC: BF840010
	s_add_u32 s88, s21, s88                                    // 0000000022D0: 80585815
	s_mov_b32 s22, s57                                         // 0000000022D4: BE960039
	s_cmp_eq_u32 s57, -1                                       // 0000000022D8: BF06C139
	s_cselect_b32 s21, 1, 0                                    // 0000000022DC: 85158081
	s_cbranch_scc0 label_01C4                                  // 0000000022E0: BF84000B
	s_add_u32 s88, s21, s88                                    // 0000000022E4: 80585815
	s_mov_b32 s22, s58                                         // 0000000022E8: BE96003A
	s_cmp_eq_u32 s58, -1                                       // 0000000022EC: BF06C13A
	s_cselect_b32 s21, 1, 0                                    // 0000000022F0: 85158081
	s_cbranch_scc0 label_01C4                                  // 0000000022F4: BF840006
	s_add_u32 s88, s21, s88                                    // 0000000022F8: 80585815
	s_mov_b32 s22, s59                                         // 0000000022FC: BE96003B
	s_cmp_eq_u32 s59, -1                                       // 000000002300: BF06C13B
	s_cselect_b32 s21, 1, 0                                    // 000000002304: 85158081
	s_cbranch_scc0 label_01C4                                  // 000000002308: BF840001
	s_add_u32 s88, s21, s88                                    // 00000000230C: 80585815

0000000000002310 <label_01C4>:
	s_set_gpr_idx_on s88, gpr_idx(DST)                         // 000000002310: BF110858
	v_writelane_b32 v25, 0, s22                                // 000000002314: D28A0019 00002C80
	s_set_gpr_idx_off                                          // 00000000231C: BF9C0000
	s_mul_i32 s88, 64, s88                                     // 000000002320: 925858C0
	s_add_u32 s88, s22, s88                                    // 000000002324: 80585816
	v_writelane_b32 v31, s88, 0                                // 000000002328: D28A001F 00010058
	v_max_f32_e32 v41, v17, v18                                // 000000002330: 16522511
	v_max3_f32 v41, v41, v19, v20                              // 000000002334: D1D30029 04522729
	v_max_f32_e32 v42, v21, v22                                // 00000000233C: 16542D15
	v_max3_f32 v42, v42, v23, v24                              // 000000002340: D1D3002A 04622F2A
	v_max_f32_e32 v43, v25, v26                                // 000000002348: 16563519
	v_max3_f32 v43, v43, v27, v28                              // 00000000234C: D1D3002B 0472372B
	v_max_f32_dpp v4, v41, v41 quad_perm:[1,0,3,2] row_mask:0xf bank_mask:0xf// 000000002354: 160852FA FF00B129
	v_max_f32_dpp v5, v42, v42 quad_perm:[1,0,3,2] row_mask:0xf bank_mask:0xf// 00000000235C: 160A54FA FF00B12A
	v_max_f32_dpp v6, v43, v43 quad_perm:[1,0,3,2] row_mask:0xf bank_mask:0xf// 000000002364: 160C56FA FF00B12B
	v_max_f32_dpp v4, v4, v4 quad_perm:[2,3,0,1] row_mask:0xf bank_mask:0xf// 00000000236C: 160808FA FF004E04
	v_max_f32_dpp v5, v5, v5 quad_perm:[2,3,0,1] row_mask:0xf bank_mask:0xf// 000000002374: 160A0AFA FF004E05
	v_max_f32_dpp v6, v6, v6 quad_perm:[2,3,0,1] row_mask:0xf bank_mask:0xf// 00000000237C: 160C0CFA FF004E06
	v_max_f32_dpp v4, v4, v4 row_shr:4 row_mask:0xf bank_mask:0xf// 000000002384: 160808FA FF011404
	v_max_f32_dpp v5, v5, v5 row_shr:4 row_mask:0xf bank_mask:0xf// 00000000238C: 160A0AFA FF011405
	v_max_f32_dpp v6, v6, v6 row_shr:4 row_mask:0xf bank_mask:0xf// 000000002394: 160C0CFA FF011406
	v_max_f32_dpp v4, v4, v4 row_shr:8 row_mask:0xf bank_mask:0xf// 00000000239C: 160808FA FF011804
	v_max_f32_dpp v5, v5, v5 row_shr:8 row_mask:0xf bank_mask:0xf// 0000000023A4: 160A0AFA FF011805
	v_max_f32_dpp v6, v6, v6 row_shr:8 row_mask:0xf bank_mask:0xf// 0000000023AC: 160C0CFA FF011806
	v_max_f32_dpp v4, v4, v4 row_bcast:15 row_mask:0xf bank_mask:0xf// 0000000023B4: 160808FA FF014204
	v_max_f32_dpp v5, v5, v5 row_bcast:15 row_mask:0xf bank_mask:0xf// 0000000023BC: 160A0AFA FF014205
	v_max_f32_dpp v6, v6, v6 row_bcast:15 row_mask:0xf bank_mask:0xf// 0000000023C4: 160C0CFA FF014206
	v_max_f32_dpp v4, v4, v4 row_bcast:31 row_mask:0xf bank_mask:0xf// 0000000023CC: 160808FA FF014304
	v_max_f32_dpp v5, v5, v5 row_bcast:31 row_mask:0xf bank_mask:0xf// 0000000023D4: 160A0AFA FF014305
	v_max_f32_dpp v6, v6, v6 row_bcast:31 row_mask:0xf bank_mask:0xf// 0000000023DC: 160C0CFA FF014306
	v_readlane_b32 s20, v4, 63                                 // 0000000023E4: D2890014 00017F04
	v_mov_b32_e32 v41, s20                                     // 0000000023EC: 7E520214
	v_readlane_b32 s21, v5, 63                                 // 0000000023F0: D2890015 00017F05
	v_mov_b32_e32 v42, s21                                     // 0000000023F8: 7E540215
	v_readlane_b32 s22, v6, 63                                 // 0000000023FC: D2890016 00017F06
	v_mov_b32_e32 v43, s22                                     // 000000002404: 7E560216
	v_cmp_eq_f32_e64 s[24:25], v41, v17                        // 000000002408: D0420018 00022329
	v_cmp_eq_f32_e64 s[26:27], v41, v18                        // 000000002410: D042001A 00022529
	v_cmp_eq_f32_e64 s[28:29], v41, v19                        // 000000002418: D042001C 00022729
	v_cmp_eq_f32_e64 s[30:31], v41, v20                        // 000000002420: D042001E 00022929
	s_ff1_i32_b64 s48, s[24:25]                                // 000000002428: BEB01118
	s_ff1_i32_b64 s49, s[26:27]                                // 00000000242C: BEB1111A
	s_ff1_i32_b64 s50, s[28:29]                                // 000000002430: BEB2111C
	s_ff1_i32_b64 s51, s[30:31]                                // 000000002434: BEB3111E
	v_cmp_eq_f32_e64 s[32:33], v42, v21                        // 000000002438: D0420020 00022B2A
	v_cmp_eq_f32_e64 s[34:35], v42, v22                        // 000000002440: D0420022 00022D2A
	v_cmp_eq_f32_e64 s[36:37], v42, v23                        // 000000002448: D0420024 00022F2A
	v_cmp_eq_f32_e64 s[38:39], v42, v24                        // 000000002450: D0420026 0002312A
	s_ff1_i32_b64 s52, s[32:33]                                // 000000002458: BEB41120
	s_ff1_i32_b64 s53, s[34:35]                                // 00000000245C: BEB51122
	s_ff1_i32_b64 s54, s[36:37]                                // 000000002460: BEB61124
	s_ff1_i32_b64 s55, s[38:39]                                // 000000002464: BEB71126
	v_cmp_eq_f32_e64 s[40:41], v43, v25                        // 000000002468: D0420028 0002332B
	v_cmp_eq_f32_e64 s[42:43], v43, v26                        // 000000002470: D042002A 0002352B
	v_cmp_eq_f32_e64 s[44:45], v43, v27                        // 000000002478: D042002C 0002372B
	v_cmp_eq_f32_e64 s[46:47], v43, v28                        // 000000002480: D042002E 0002392B
	s_ff1_i32_b64 s56, s[40:41]                                // 000000002488: BEB81128
	s_ff1_i32_b64 s57, s[42:43]                                // 00000000248C: BEB9112A
	s_ff1_i32_b64 s58, s[44:45]                                // 000000002490: BEBA112C
	s_ff1_i32_b64 s59, s[46:47]                                // 000000002494: BEBB112E
	v_readlane_b32 s20, v41, 0                                 // 000000002498: D2890014 00010129
	v_writelane_b32 v32, s20, 1                                // 0000000024A0: D28A0020 00010214
	v_readlane_b32 s21, v42, 0                                 // 0000000024A8: D2890015 0001012A
	v_writelane_b32 v33, s21, 1                                // 0000000024B0: D28A0021 00010215
	v_readlane_b32 s22, v43, 0                                 // 0000000024B8: D2890016 0001012B
	v_writelane_b32 v34, s22, 1                                // 0000000024C0: D28A0022 00010216
	s_mov_b32 s22, s48                                         // 0000000024C8: BE960030
	s_cmp_eq_u32 s48, -1                                       // 0000000024CC: BF06C130
	s_cselect_b32 s21, 1, 0                                    // 0000000024D0: 85158081
	s_cbranch_scc0 label_0246                                  // 0000000024D4: BF840010
	s_add_u32 s73, s21, s73                                    // 0000000024D8: 80494915
	s_mov_b32 s22, s49                                         // 0000000024DC: BE960031
	s_cmp_eq_u32 s49, -1                                       // 0000000024E0: BF06C131
	s_cselect_b32 s21, 1, 0                                    // 0000000024E4: 85158081
	s_cbranch_scc0 label_0246                                  // 0000000024E8: BF84000B
	s_add_u32 s73, s21, s73                                    // 0000000024EC: 80494915
	s_mov_b32 s22, s50                                         // 0000000024F0: BE960032
	s_cmp_eq_u32 s50, -1                                       // 0000000024F4: BF06C132
	s_cselect_b32 s21, 1, 0                                    // 0000000024F8: 85158081
	s_cbranch_scc0 label_0246                                  // 0000000024FC: BF840006
	s_add_u32 s73, s21, s73                                    // 000000002500: 80494915
	s_mov_b32 s22, s51                                         // 000000002504: BE960033
	s_cmp_eq_u32 s51, -1                                       // 000000002508: BF06C133
	s_cselect_b32 s21, 1, 0                                    // 00000000250C: 85158081
	s_cbranch_scc0 label_0246                                  // 000000002510: BF840001
	s_add_u32 s73, s21, s73                                    // 000000002514: 80494915

0000000000002518 <label_0246>:
	s_set_gpr_idx_on s73, gpr_idx(DST)                         // 000000002518: BF110849
	v_writelane_b32 v17, 0, s22                                // 00000000251C: D28A0011 00002C80
	s_set_gpr_idx_off                                          // 000000002524: BF9C0000
	s_mul_i32 s73, 64, s73                                     // 000000002528: 924949C0
	s_add_u32 s73, s22, s73                                    // 00000000252C: 80494916
	v_writelane_b32 v29, s73, 1                                // 000000002530: D28A001D 00010249
	s_mov_b32 s22, s52                                         // 000000002538: BE960034
	s_cmp_eq_u32 s52, -1                                       // 00000000253C: BF06C134
	s_cselect_b32 s21, 1, 0                                    // 000000002540: 85158081
	s_cbranch_scc0 label_0262                                  // 000000002544: BF840010
	s_add_u32 s81, s21, s81                                    // 000000002548: 80515115
	s_mov_b32 s22, s53                                         // 00000000254C: BE960035
	s_cmp_eq_u32 s53, -1                                       // 000000002550: BF06C135
	s_cselect_b32 s21, 1, 0                                    // 000000002554: 85158081
	s_cbranch_scc0 label_0262                                  // 000000002558: BF84000B
	s_add_u32 s81, s21, s81                                    // 00000000255C: 80515115
	s_mov_b32 s22, s54                                         // 000000002560: BE960036
	s_cmp_eq_u32 s54, -1                                       // 000000002564: BF06C136
	s_cselect_b32 s21, 1, 0                                    // 000000002568: 85158081
	s_cbranch_scc0 label_0262                                  // 00000000256C: BF840006
	s_add_u32 s81, s21, s81                                    // 000000002570: 80515115
	s_mov_b32 s22, s55                                         // 000000002574: BE960037
	s_cmp_eq_u32 s55, -1                                       // 000000002578: BF06C137
	s_cselect_b32 s21, 1, 0                                    // 00000000257C: 85158081
	s_cbranch_scc0 label_0262                                  // 000000002580: BF840001
	s_add_u32 s81, s21, s81                                    // 000000002584: 80515115

0000000000002588 <label_0262>:
	s_set_gpr_idx_on s81, gpr_idx(DST)                         // 000000002588: BF110851
	v_writelane_b32 v21, 0, s22                                // 00000000258C: D28A0015 00002C80
	s_set_gpr_idx_off                                          // 000000002594: BF9C0000
	s_mul_i32 s81, 64, s81                                     // 000000002598: 925151C0
	s_add_u32 s81, s22, s81                                    // 00000000259C: 80515116
	v_writelane_b32 v30, s81, 1                                // 0000000025A0: D28A001E 00010251
	s_mov_b32 s22, s56                                         // 0000000025A8: BE960038
	s_cmp_eq_u32 s56, -1                                       // 0000000025AC: BF06C138
	s_cselect_b32 s21, 1, 0                                    // 0000000025B0: 85158081
	s_cbranch_scc0 label_027E                                  // 0000000025B4: BF840010
	s_add_u32 s89, s21, s89                                    // 0000000025B8: 80595915
	s_mov_b32 s22, s57                                         // 0000000025BC: BE960039
	s_cmp_eq_u32 s57, -1                                       // 0000000025C0: BF06C139
	s_cselect_b32 s21, 1, 0                                    // 0000000025C4: 85158081
	s_cbranch_scc0 label_027E                                  // 0000000025C8: BF84000B
	s_add_u32 s89, s21, s89                                    // 0000000025CC: 80595915
	s_mov_b32 s22, s58                                         // 0000000025D0: BE96003A
	s_cmp_eq_u32 s58, -1                                       // 0000000025D4: BF06C13A
	s_cselect_b32 s21, 1, 0                                    // 0000000025D8: 85158081
	s_cbranch_scc0 label_027E                                  // 0000000025DC: BF840006
	s_add_u32 s89, s21, s89                                    // 0000000025E0: 80595915
	s_mov_b32 s22, s59                                         // 0000000025E4: BE96003B
	s_cmp_eq_u32 s59, -1                                       // 0000000025E8: BF06C13B
	s_cselect_b32 s21, 1, 0                                    // 0000000025EC: 85158081
	s_cbranch_scc0 label_027E                                  // 0000000025F0: BF840001
	s_add_u32 s89, s21, s89                                    // 0000000025F4: 80595915

00000000000025f8 <label_027E>:
	s_set_gpr_idx_on s89, gpr_idx(DST)                         // 0000000025F8: BF110859
	v_writelane_b32 v25, 0, s22                                // 0000000025FC: D28A0019 00002C80
	s_set_gpr_idx_off                                          // 000000002604: BF9C0000
	s_mul_i32 s89, 64, s89                                     // 000000002608: 925959C0
	s_add_u32 s89, s22, s89                                    // 00000000260C: 80595916
	v_writelane_b32 v31, s89, 1                                // 000000002610: D28A001F 00010259
	v_max_f32_e32 v41, v17, v18                                // 000000002618: 16522511
	v_max3_f32 v41, v41, v19, v20                              // 00000000261C: D1D30029 04522729
	v_max_f32_e32 v42, v21, v22                                // 000000002624: 16542D15
	v_max3_f32 v42, v42, v23, v24                              // 000000002628: D1D3002A 04622F2A
	v_max_f32_e32 v43, v25, v26                                // 000000002630: 16563519
	v_max3_f32 v43, v43, v27, v28                              // 000000002634: D1D3002B 0472372B
	v_max_f32_dpp v4, v41, v41 quad_perm:[1,0,3,2] row_mask:0xf bank_mask:0xf// 00000000263C: 160852FA FF00B129
	v_max_f32_dpp v5, v42, v42 quad_perm:[1,0,3,2] row_mask:0xf bank_mask:0xf// 000000002644: 160A54FA FF00B12A
	v_max_f32_dpp v6, v43, v43 quad_perm:[1,0,3,2] row_mask:0xf bank_mask:0xf// 00000000264C: 160C56FA FF00B12B
	v_max_f32_dpp v4, v4, v4 quad_perm:[2,3,0,1] row_mask:0xf bank_mask:0xf// 000000002654: 160808FA FF004E04
	v_max_f32_dpp v5, v5, v5 quad_perm:[2,3,0,1] row_mask:0xf bank_mask:0xf// 00000000265C: 160A0AFA FF004E05
	v_max_f32_dpp v6, v6, v6 quad_perm:[2,3,0,1] row_mask:0xf bank_mask:0xf// 000000002664: 160C0CFA FF004E06
	v_max_f32_dpp v4, v4, v4 row_shr:4 row_mask:0xf bank_mask:0xf// 00000000266C: 160808FA FF011404
	v_max_f32_dpp v5, v5, v5 row_shr:4 row_mask:0xf bank_mask:0xf// 000000002674: 160A0AFA FF011405
	v_max_f32_dpp v6, v6, v6 row_shr:4 row_mask:0xf bank_mask:0xf// 00000000267C: 160C0CFA FF011406
	v_max_f32_dpp v4, v4, v4 row_shr:8 row_mask:0xf bank_mask:0xf// 000000002684: 160808FA FF011804
	v_max_f32_dpp v5, v5, v5 row_shr:8 row_mask:0xf bank_mask:0xf// 00000000268C: 160A0AFA FF011805
	v_max_f32_dpp v6, v6, v6 row_shr:8 row_mask:0xf bank_mask:0xf// 000000002694: 160C0CFA FF011806
	v_max_f32_dpp v4, v4, v4 row_bcast:15 row_mask:0xf bank_mask:0xf// 00000000269C: 160808FA FF014204
	v_max_f32_dpp v5, v5, v5 row_bcast:15 row_mask:0xf bank_mask:0xf// 0000000026A4: 160A0AFA FF014205
	v_max_f32_dpp v6, v6, v6 row_bcast:15 row_mask:0xf bank_mask:0xf// 0000000026AC: 160C0CFA FF014206
	v_max_f32_dpp v4, v4, v4 row_bcast:31 row_mask:0xf bank_mask:0xf// 0000000026B4: 160808FA FF014304
	v_max_f32_dpp v5, v5, v5 row_bcast:31 row_mask:0xf bank_mask:0xf// 0000000026BC: 160A0AFA FF014305
	v_max_f32_dpp v6, v6, v6 row_bcast:31 row_mask:0xf bank_mask:0xf// 0000000026C4: 160C0CFA FF014306
	v_readlane_b32 s20, v4, 63                                 // 0000000026CC: D2890014 00017F04
	v_mov_b32_e32 v41, s20                                     // 0000000026D4: 7E520214
	v_readlane_b32 s21, v5, 63                                 // 0000000026D8: D2890015 00017F05
	v_mov_b32_e32 v42, s21                                     // 0000000026E0: 7E540215
	v_readlane_b32 s22, v6, 63                                 // 0000000026E4: D2890016 00017F06
	v_mov_b32_e32 v43, s22                                     // 0000000026EC: 7E560216
	v_cmp_eq_f32_e64 s[24:25], v41, v17                        // 0000000026F0: D0420018 00022329
	v_cmp_eq_f32_e64 s[26:27], v41, v18                        // 0000000026F8: D042001A 00022529
	v_cmp_eq_f32_e64 s[28:29], v41, v19                        // 000000002700: D042001C 00022729
	v_cmp_eq_f32_e64 s[30:31], v41, v20                        // 000000002708: D042001E 00022929
	s_ff1_i32_b64 s48, s[24:25]                                // 000000002710: BEB01118
	s_ff1_i32_b64 s49, s[26:27]                                // 000000002714: BEB1111A
	s_ff1_i32_b64 s50, s[28:29]                                // 000000002718: BEB2111C
	s_ff1_i32_b64 s51, s[30:31]                                // 00000000271C: BEB3111E
	v_cmp_eq_f32_e64 s[32:33], v42, v21                        // 000000002720: D0420020 00022B2A
	v_cmp_eq_f32_e64 s[34:35], v42, v22                        // 000000002728: D0420022 00022D2A
	v_cmp_eq_f32_e64 s[36:37], v42, v23                        // 000000002730: D0420024 00022F2A
	v_cmp_eq_f32_e64 s[38:39], v42, v24                        // 000000002738: D0420026 0002312A
	s_ff1_i32_b64 s52, s[32:33]                                // 000000002740: BEB41120
	s_ff1_i32_b64 s53, s[34:35]                                // 000000002744: BEB51122
	s_ff1_i32_b64 s54, s[36:37]                                // 000000002748: BEB61124
	s_ff1_i32_b64 s55, s[38:39]                                // 00000000274C: BEB71126
	v_cmp_eq_f32_e64 s[40:41], v43, v25                        // 000000002750: D0420028 0002332B
	v_cmp_eq_f32_e64 s[42:43], v43, v26                        // 000000002758: D042002A 0002352B
	v_cmp_eq_f32_e64 s[44:45], v43, v27                        // 000000002760: D042002C 0002372B
	v_cmp_eq_f32_e64 s[46:47], v43, v28                        // 000000002768: D042002E 0002392B
	s_ff1_i32_b64 s56, s[40:41]                                // 000000002770: BEB81128
	s_ff1_i32_b64 s57, s[42:43]                                // 000000002774: BEB9112A
	s_ff1_i32_b64 s58, s[44:45]                                // 000000002778: BEBA112C
	s_ff1_i32_b64 s59, s[46:47]                                // 00000000277C: BEBB112E
	v_readlane_b32 s20, v41, 0                                 // 000000002780: D2890014 00010129
	v_writelane_b32 v32, s20, 2                                // 000000002788: D28A0020 00010414
	v_readlane_b32 s21, v42, 0                                 // 000000002790: D2890015 0001012A
	v_writelane_b32 v33, s21, 2                                // 000000002798: D28A0021 00010415
	v_readlane_b32 s22, v43, 0                                 // 0000000027A0: D2890016 0001012B
	v_writelane_b32 v34, s22, 2                                // 0000000027A8: D28A0022 00010416
	s_mov_b32 s22, s48                                         // 0000000027B0: BE960030
	s_cmp_eq_u32 s48, -1                                       // 0000000027B4: BF06C130
	s_cselect_b32 s21, 1, 0                                    // 0000000027B8: 85158081
	s_cbranch_scc0 label_0300                                  // 0000000027BC: BF840010
	s_add_u32 s74, s21, s74                                    // 0000000027C0: 804A4A15
	s_mov_b32 s22, s49                                         // 0000000027C4: BE960031
	s_cmp_eq_u32 s49, -1                                       // 0000000027C8: BF06C131
	s_cselect_b32 s21, 1, 0                                    // 0000000027CC: 85158081
	s_cbranch_scc0 label_0300                                  // 0000000027D0: BF84000B
	s_add_u32 s74, s21, s74                                    // 0000000027D4: 804A4A15
	s_mov_b32 s22, s50                                         // 0000000027D8: BE960032
	s_cmp_eq_u32 s50, -1                                       // 0000000027DC: BF06C132
	s_cselect_b32 s21, 1, 0                                    // 0000000027E0: 85158081
	s_cbranch_scc0 label_0300                                  // 0000000027E4: BF840006
	s_add_u32 s74, s21, s74                                    // 0000000027E8: 804A4A15
	s_mov_b32 s22, s51                                         // 0000000027EC: BE960033
	s_cmp_eq_u32 s51, -1                                       // 0000000027F0: BF06C133
	s_cselect_b32 s21, 1, 0                                    // 0000000027F4: 85158081
	s_cbranch_scc0 label_0300                                  // 0000000027F8: BF840001
	s_add_u32 s74, s21, s74                                    // 0000000027FC: 804A4A15

0000000000002800 <label_0300>:
	s_set_gpr_idx_on s74, gpr_idx(DST)                         // 000000002800: BF11084A
	v_writelane_b32 v17, 0, s22                                // 000000002804: D28A0011 00002C80
	s_set_gpr_idx_off                                          // 00000000280C: BF9C0000
	s_mul_i32 s74, 64, s74                                     // 000000002810: 924A4AC0
	s_add_u32 s74, s22, s74                                    // 000000002814: 804A4A16
	v_writelane_b32 v29, s74, 2                                // 000000002818: D28A001D 0001044A
	s_mov_b32 s22, s52                                         // 000000002820: BE960034
	s_cmp_eq_u32 s52, -1                                       // 000000002824: BF06C134
	s_cselect_b32 s21, 1, 0                                    // 000000002828: 85158081
	s_cbranch_scc0 label_031C                                  // 00000000282C: BF840010
	s_add_u32 s82, s21, s82                                    // 000000002830: 80525215
	s_mov_b32 s22, s53                                         // 000000002834: BE960035
	s_cmp_eq_u32 s53, -1                                       // 000000002838: BF06C135
	s_cselect_b32 s21, 1, 0                                    // 00000000283C: 85158081
	s_cbranch_scc0 label_031C                                  // 000000002840: BF84000B
	s_add_u32 s82, s21, s82                                    // 000000002844: 80525215
	s_mov_b32 s22, s54                                         // 000000002848: BE960036
	s_cmp_eq_u32 s54, -1                                       // 00000000284C: BF06C136
	s_cselect_b32 s21, 1, 0                                    // 000000002850: 85158081
	s_cbranch_scc0 label_031C                                  // 000000002854: BF840006
	s_add_u32 s82, s21, s82                                    // 000000002858: 80525215
	s_mov_b32 s22, s55                                         // 00000000285C: BE960037
	s_cmp_eq_u32 s55, -1                                       // 000000002860: BF06C137
	s_cselect_b32 s21, 1, 0                                    // 000000002864: 85158081
	s_cbranch_scc0 label_031C                                  // 000000002868: BF840001
	s_add_u32 s82, s21, s82                                    // 00000000286C: 80525215

0000000000002870 <label_031C>:
	s_set_gpr_idx_on s82, gpr_idx(DST)                         // 000000002870: BF110852
	v_writelane_b32 v21, 0, s22                                // 000000002874: D28A0015 00002C80
	s_set_gpr_idx_off                                          // 00000000287C: BF9C0000
	s_mul_i32 s82, 64, s82                                     // 000000002880: 925252C0
	s_add_u32 s82, s22, s82                                    // 000000002884: 80525216
	v_writelane_b32 v30, s82, 2                                // 000000002888: D28A001E 00010452
	s_mov_b32 s22, s56                                         // 000000002890: BE960038
	s_cmp_eq_u32 s56, -1                                       // 000000002894: BF06C138
	s_cselect_b32 s21, 1, 0                                    // 000000002898: 85158081
	s_cbranch_scc0 label_0338                                  // 00000000289C: BF840010
	s_add_u32 s90, s21, s90                                    // 0000000028A0: 805A5A15
	s_mov_b32 s22, s57                                         // 0000000028A4: BE960039
	s_cmp_eq_u32 s57, -1                                       // 0000000028A8: BF06C139
	s_cselect_b32 s21, 1, 0                                    // 0000000028AC: 85158081
	s_cbranch_scc0 label_0338                                  // 0000000028B0: BF84000B
	s_add_u32 s90, s21, s90                                    // 0000000028B4: 805A5A15
	s_mov_b32 s22, s58                                         // 0000000028B8: BE96003A
	s_cmp_eq_u32 s58, -1                                       // 0000000028BC: BF06C13A
	s_cselect_b32 s21, 1, 0                                    // 0000000028C0: 85158081
	s_cbranch_scc0 label_0338                                  // 0000000028C4: BF840006
	s_add_u32 s90, s21, s90                                    // 0000000028C8: 805A5A15
	s_mov_b32 s22, s59                                         // 0000000028CC: BE96003B
	s_cmp_eq_u32 s59, -1                                       // 0000000028D0: BF06C13B
	s_cselect_b32 s21, 1, 0                                    // 0000000028D4: 85158081
	s_cbranch_scc0 label_0338                                  // 0000000028D8: BF840001
	s_add_u32 s90, s21, s90                                    // 0000000028DC: 805A5A15

00000000000028e0 <label_0338>:
	s_set_gpr_idx_on s90, gpr_idx(DST)                         // 0000000028E0: BF11085A
	v_writelane_b32 v25, 0, s22                                // 0000000028E4: D28A0019 00002C80
	s_set_gpr_idx_off                                          // 0000000028EC: BF9C0000
	s_mul_i32 s90, 64, s90                                     // 0000000028F0: 925A5AC0
	s_add_u32 s90, s22, s90                                    // 0000000028F4: 805A5A16
	v_writelane_b32 v31, s90, 2                                // 0000000028F8: D28A001F 0001045A
	v_max_f32_e32 v41, v17, v18                                // 000000002900: 16522511
	v_max3_f32 v41, v41, v19, v20                              // 000000002904: D1D30029 04522729
	v_max_f32_e32 v42, v21, v22                                // 00000000290C: 16542D15
	v_max3_f32 v42, v42, v23, v24                              // 000000002910: D1D3002A 04622F2A
	v_max_f32_e32 v43, v25, v26                                // 000000002918: 16563519
	v_max3_f32 v43, v43, v27, v28                              // 00000000291C: D1D3002B 0472372B
	v_max_f32_dpp v4, v41, v41 quad_perm:[1,0,3,2] row_mask:0xf bank_mask:0xf// 000000002924: 160852FA FF00B129
	v_max_f32_dpp v5, v42, v42 quad_perm:[1,0,3,2] row_mask:0xf bank_mask:0xf// 00000000292C: 160A54FA FF00B12A
	v_max_f32_dpp v6, v43, v43 quad_perm:[1,0,3,2] row_mask:0xf bank_mask:0xf// 000000002934: 160C56FA FF00B12B
	v_max_f32_dpp v4, v4, v4 quad_perm:[2,3,0,1] row_mask:0xf bank_mask:0xf// 00000000293C: 160808FA FF004E04
	v_max_f32_dpp v5, v5, v5 quad_perm:[2,3,0,1] row_mask:0xf bank_mask:0xf// 000000002944: 160A0AFA FF004E05
	v_max_f32_dpp v6, v6, v6 quad_perm:[2,3,0,1] row_mask:0xf bank_mask:0xf// 00000000294C: 160C0CFA FF004E06
	v_max_f32_dpp v4, v4, v4 row_shr:4 row_mask:0xf bank_mask:0xf// 000000002954: 160808FA FF011404
	v_max_f32_dpp v5, v5, v5 row_shr:4 row_mask:0xf bank_mask:0xf// 00000000295C: 160A0AFA FF011405
	v_max_f32_dpp v6, v6, v6 row_shr:4 row_mask:0xf bank_mask:0xf// 000000002964: 160C0CFA FF011406
	v_max_f32_dpp v4, v4, v4 row_shr:8 row_mask:0xf bank_mask:0xf// 00000000296C: 160808FA FF011804
	v_max_f32_dpp v5, v5, v5 row_shr:8 row_mask:0xf bank_mask:0xf// 000000002974: 160A0AFA FF011805
	v_max_f32_dpp v6, v6, v6 row_shr:8 row_mask:0xf bank_mask:0xf// 00000000297C: 160C0CFA FF011806
	v_max_f32_dpp v4, v4, v4 row_bcast:15 row_mask:0xf bank_mask:0xf// 000000002984: 160808FA FF014204
	v_max_f32_dpp v5, v5, v5 row_bcast:15 row_mask:0xf bank_mask:0xf// 00000000298C: 160A0AFA FF014205
	v_max_f32_dpp v6, v6, v6 row_bcast:15 row_mask:0xf bank_mask:0xf// 000000002994: 160C0CFA FF014206
	v_max_f32_dpp v4, v4, v4 row_bcast:31 row_mask:0xf bank_mask:0xf// 00000000299C: 160808FA FF014304
	v_max_f32_dpp v5, v5, v5 row_bcast:31 row_mask:0xf bank_mask:0xf// 0000000029A4: 160A0AFA FF014305
	v_max_f32_dpp v6, v6, v6 row_bcast:31 row_mask:0xf bank_mask:0xf// 0000000029AC: 160C0CFA FF014306
	v_readlane_b32 s20, v4, 63                                 // 0000000029B4: D2890014 00017F04
	v_mov_b32_e32 v41, s20                                     // 0000000029BC: 7E520214
	v_readlane_b32 s21, v5, 63                                 // 0000000029C0: D2890015 00017F05
	v_mov_b32_e32 v42, s21                                     // 0000000029C8: 7E540215
	v_readlane_b32 s22, v6, 63                                 // 0000000029CC: D2890016 00017F06
	v_mov_b32_e32 v43, s22                                     // 0000000029D4: 7E560216
	v_cmp_eq_f32_e64 s[24:25], v41, v17                        // 0000000029D8: D0420018 00022329
	v_cmp_eq_f32_e64 s[26:27], v41, v18                        // 0000000029E0: D042001A 00022529
	v_cmp_eq_f32_e64 s[28:29], v41, v19                        // 0000000029E8: D042001C 00022729
	v_cmp_eq_f32_e64 s[30:31], v41, v20                        // 0000000029F0: D042001E 00022929
	s_ff1_i32_b64 s48, s[24:25]                                // 0000000029F8: BEB01118
	s_ff1_i32_b64 s49, s[26:27]                                // 0000000029FC: BEB1111A
	s_ff1_i32_b64 s50, s[28:29]                                // 000000002A00: BEB2111C
	s_ff1_i32_b64 s51, s[30:31]                                // 000000002A04: BEB3111E
	v_cmp_eq_f32_e64 s[32:33], v42, v21                        // 000000002A08: D0420020 00022B2A
	v_cmp_eq_f32_e64 s[34:35], v42, v22                        // 000000002A10: D0420022 00022D2A
	v_cmp_eq_f32_e64 s[36:37], v42, v23                        // 000000002A18: D0420024 00022F2A
	v_cmp_eq_f32_e64 s[38:39], v42, v24                        // 000000002A20: D0420026 0002312A
	s_ff1_i32_b64 s52, s[32:33]                                // 000000002A28: BEB41120
	s_ff1_i32_b64 s53, s[34:35]                                // 000000002A2C: BEB51122
	s_ff1_i32_b64 s54, s[36:37]                                // 000000002A30: BEB61124
	s_ff1_i32_b64 s55, s[38:39]                                // 000000002A34: BEB71126
	v_cmp_eq_f32_e64 s[40:41], v43, v25                        // 000000002A38: D0420028 0002332B
	v_cmp_eq_f32_e64 s[42:43], v43, v26                        // 000000002A40: D042002A 0002352B
	v_cmp_eq_f32_e64 s[44:45], v43, v27                        // 000000002A48: D042002C 0002372B
	v_cmp_eq_f32_e64 s[46:47], v43, v28                        // 000000002A50: D042002E 0002392B
	s_ff1_i32_b64 s56, s[40:41]                                // 000000002A58: BEB81128
	s_ff1_i32_b64 s57, s[42:43]                                // 000000002A5C: BEB9112A
	s_ff1_i32_b64 s58, s[44:45]                                // 000000002A60: BEBA112C
	s_ff1_i32_b64 s59, s[46:47]                                // 000000002A64: BEBB112E
	v_readlane_b32 s20, v41, 0                                 // 000000002A68: D2890014 00010129
	v_writelane_b32 v32, s20, 3                                // 000000002A70: D28A0020 00010614
	v_readlane_b32 s21, v42, 0                                 // 000000002A78: D2890015 0001012A
	v_writelane_b32 v33, s21, 3                                // 000000002A80: D28A0021 00010615
	v_readlane_b32 s22, v43, 0                                 // 000000002A88: D2890016 0001012B
	v_writelane_b32 v34, s22, 3                                // 000000002A90: D28A0022 00010616
	s_mov_b32 s22, s48                                         // 000000002A98: BE960030
	s_cmp_eq_u32 s48, -1                                       // 000000002A9C: BF06C130
	s_cselect_b32 s21, 1, 0                                    // 000000002AA0: 85158081
	s_cbranch_scc0 label_03BA                                  // 000000002AA4: BF840010
	s_add_u32 s75, s21, s75                                    // 000000002AA8: 804B4B15
	s_mov_b32 s22, s49                                         // 000000002AAC: BE960031
	s_cmp_eq_u32 s49, -1                                       // 000000002AB0: BF06C131
	s_cselect_b32 s21, 1, 0                                    // 000000002AB4: 85158081
	s_cbranch_scc0 label_03BA                                  // 000000002AB8: BF84000B
	s_add_u32 s75, s21, s75                                    // 000000002ABC: 804B4B15
	s_mov_b32 s22, s50                                         // 000000002AC0: BE960032
	s_cmp_eq_u32 s50, -1                                       // 000000002AC4: BF06C132
	s_cselect_b32 s21, 1, 0                                    // 000000002AC8: 85158081
	s_cbranch_scc0 label_03BA                                  // 000000002ACC: BF840006
	s_add_u32 s75, s21, s75                                    // 000000002AD0: 804B4B15
	s_mov_b32 s22, s51                                         // 000000002AD4: BE960033
	s_cmp_eq_u32 s51, -1                                       // 000000002AD8: BF06C133
	s_cselect_b32 s21, 1, 0                                    // 000000002ADC: 85158081
	s_cbranch_scc0 label_03BA                                  // 000000002AE0: BF840001
	s_add_u32 s75, s21, s75                                    // 000000002AE4: 804B4B15

0000000000002ae8 <label_03BA>:
	s_set_gpr_idx_on s75, gpr_idx(DST)                         // 000000002AE8: BF11084B
	v_writelane_b32 v17, 0, s22                                // 000000002AEC: D28A0011 00002C80
	s_set_gpr_idx_off                                          // 000000002AF4: BF9C0000
	s_mul_i32 s75, 64, s75                                     // 000000002AF8: 924B4BC0
	s_add_u32 s75, s22, s75                                    // 000000002AFC: 804B4B16
	v_writelane_b32 v29, s75, 3                                // 000000002B00: D28A001D 0001064B
	s_mov_b32 s22, s52                                         // 000000002B08: BE960034
	s_cmp_eq_u32 s52, -1                                       // 000000002B0C: BF06C134
	s_cselect_b32 s21, 1, 0                                    // 000000002B10: 85158081
	s_cbranch_scc0 label_03D6                                  // 000000002B14: BF840010
	s_add_u32 s83, s21, s83                                    // 000000002B18: 80535315
	s_mov_b32 s22, s53                                         // 000000002B1C: BE960035
	s_cmp_eq_u32 s53, -1                                       // 000000002B20: BF06C135
	s_cselect_b32 s21, 1, 0                                    // 000000002B24: 85158081
	s_cbranch_scc0 label_03D6                                  // 000000002B28: BF84000B
	s_add_u32 s83, s21, s83                                    // 000000002B2C: 80535315
	s_mov_b32 s22, s54                                         // 000000002B30: BE960036
	s_cmp_eq_u32 s54, -1                                       // 000000002B34: BF06C136
	s_cselect_b32 s21, 1, 0                                    // 000000002B38: 85158081
	s_cbranch_scc0 label_03D6                                  // 000000002B3C: BF840006
	s_add_u32 s83, s21, s83                                    // 000000002B40: 80535315
	s_mov_b32 s22, s55                                         // 000000002B44: BE960037
	s_cmp_eq_u32 s55, -1                                       // 000000002B48: BF06C137
	s_cselect_b32 s21, 1, 0                                    // 000000002B4C: 85158081
	s_cbranch_scc0 label_03D6                                  // 000000002B50: BF840001
	s_add_u32 s83, s21, s83                                    // 000000002B54: 80535315

0000000000002b58 <label_03D6>:
	s_set_gpr_idx_on s83, gpr_idx(DST)                         // 000000002B58: BF110853
	v_writelane_b32 v21, 0, s22                                // 000000002B5C: D28A0015 00002C80
	s_set_gpr_idx_off                                          // 000000002B64: BF9C0000
	s_mul_i32 s83, 64, s83                                     // 000000002B68: 925353C0
	s_add_u32 s83, s22, s83                                    // 000000002B6C: 80535316
	v_writelane_b32 v30, s83, 3                                // 000000002B70: D28A001E 00010653
	s_mov_b32 s22, s56                                         // 000000002B78: BE960038
	s_cmp_eq_u32 s56, -1                                       // 000000002B7C: BF06C138
	s_cselect_b32 s21, 1, 0                                    // 000000002B80: 85158081
	s_cbranch_scc0 label_03F2                                  // 000000002B84: BF840010
	s_add_u32 s91, s21, s91                                    // 000000002B88: 805B5B15
	s_mov_b32 s22, s57                                         // 000000002B8C: BE960039
	s_cmp_eq_u32 s57, -1                                       // 000000002B90: BF06C139
	s_cselect_b32 s21, 1, 0                                    // 000000002B94: 85158081
	s_cbranch_scc0 label_03F2                                  // 000000002B98: BF84000B
	s_add_u32 s91, s21, s91                                    // 000000002B9C: 805B5B15
	s_mov_b32 s22, s58                                         // 000000002BA0: BE96003A
	s_cmp_eq_u32 s58, -1                                       // 000000002BA4: BF06C13A
	s_cselect_b32 s21, 1, 0                                    // 000000002BA8: 85158081
	s_cbranch_scc0 label_03F2                                  // 000000002BAC: BF840006
	s_add_u32 s91, s21, s91                                    // 000000002BB0: 805B5B15
	s_mov_b32 s22, s59                                         // 000000002BB4: BE96003B
	s_cmp_eq_u32 s59, -1                                       // 000000002BB8: BF06C13B
	s_cselect_b32 s21, 1, 0                                    // 000000002BBC: 85158081
	s_cbranch_scc0 label_03F2                                  // 000000002BC0: BF840001
	s_add_u32 s91, s21, s91                                    // 000000002BC4: 805B5B15

0000000000002bc8 <label_03F2>:
	s_set_gpr_idx_on s91, gpr_idx(DST)                         // 000000002BC8: BF11085B
	v_writelane_b32 v25, 0, s22                                // 000000002BCC: D28A0019 00002C80
	s_set_gpr_idx_off                                          // 000000002BD4: BF9C0000
	s_mul_i32 s91, 64, s91                                     // 000000002BD8: 925B5BC0
	s_add_u32 s91, s22, s91                                    // 000000002BDC: 805B5B16
	v_writelane_b32 v31, s91, 3                                // 000000002BE0: D28A001F 0001065B
	v_max_f32_e32 v41, v17, v18                                // 000000002BE8: 16522511
	v_max3_f32 v41, v41, v19, v20                              // 000000002BEC: D1D30029 04522729
	v_max_f32_e32 v42, v21, v22                                // 000000002BF4: 16542D15
	v_max3_f32 v42, v42, v23, v24                              // 000000002BF8: D1D3002A 04622F2A
	v_max_f32_e32 v43, v25, v26                                // 000000002C00: 16563519
	v_max3_f32 v43, v43, v27, v28                              // 000000002C04: D1D3002B 0472372B
	v_max_f32_dpp v4, v41, v41 quad_perm:[1,0,3,2] row_mask:0xf bank_mask:0xf// 000000002C0C: 160852FA FF00B129
	v_max_f32_dpp v5, v42, v42 quad_perm:[1,0,3,2] row_mask:0xf bank_mask:0xf// 000000002C14: 160A54FA FF00B12A
	v_max_f32_dpp v6, v43, v43 quad_perm:[1,0,3,2] row_mask:0xf bank_mask:0xf// 000000002C1C: 160C56FA FF00B12B
	v_max_f32_dpp v4, v4, v4 quad_perm:[2,3,0,1] row_mask:0xf bank_mask:0xf// 000000002C24: 160808FA FF004E04
	v_max_f32_dpp v5, v5, v5 quad_perm:[2,3,0,1] row_mask:0xf bank_mask:0xf// 000000002C2C: 160A0AFA FF004E05
	v_max_f32_dpp v6, v6, v6 quad_perm:[2,3,0,1] row_mask:0xf bank_mask:0xf// 000000002C34: 160C0CFA FF004E06
	v_max_f32_dpp v4, v4, v4 row_shr:4 row_mask:0xf bank_mask:0xf// 000000002C3C: 160808FA FF011404
	v_max_f32_dpp v5, v5, v5 row_shr:4 row_mask:0xf bank_mask:0xf// 000000002C44: 160A0AFA FF011405
	v_max_f32_dpp v6, v6, v6 row_shr:4 row_mask:0xf bank_mask:0xf// 000000002C4C: 160C0CFA FF011406
	v_max_f32_dpp v4, v4, v4 row_shr:8 row_mask:0xf bank_mask:0xf// 000000002C54: 160808FA FF011804
	v_max_f32_dpp v5, v5, v5 row_shr:8 row_mask:0xf bank_mask:0xf// 000000002C5C: 160A0AFA FF011805
	v_max_f32_dpp v6, v6, v6 row_shr:8 row_mask:0xf bank_mask:0xf// 000000002C64: 160C0CFA FF011806
	v_max_f32_dpp v4, v4, v4 row_bcast:15 row_mask:0xf bank_mask:0xf// 000000002C6C: 160808FA FF014204
	v_max_f32_dpp v5, v5, v5 row_bcast:15 row_mask:0xf bank_mask:0xf// 000000002C74: 160A0AFA FF014205
	v_max_f32_dpp v6, v6, v6 row_bcast:15 row_mask:0xf bank_mask:0xf// 000000002C7C: 160C0CFA FF014206
	v_max_f32_dpp v4, v4, v4 row_bcast:31 row_mask:0xf bank_mask:0xf// 000000002C84: 160808FA FF014304
	v_max_f32_dpp v5, v5, v5 row_bcast:31 row_mask:0xf bank_mask:0xf// 000000002C8C: 160A0AFA FF014305
	v_max_f32_dpp v6, v6, v6 row_bcast:31 row_mask:0xf bank_mask:0xf// 000000002C94: 160C0CFA FF014306
	v_readlane_b32 s20, v4, 63                                 // 000000002C9C: D2890014 00017F04
	v_mov_b32_e32 v41, s20                                     // 000000002CA4: 7E520214
	v_readlane_b32 s21, v5, 63                                 // 000000002CA8: D2890015 00017F05
	v_mov_b32_e32 v42, s21                                     // 000000002CB0: 7E540215
	v_readlane_b32 s22, v6, 63                                 // 000000002CB4: D2890016 00017F06
	v_mov_b32_e32 v43, s22                                     // 000000002CBC: 7E560216
	v_cmp_eq_f32_e64 s[24:25], v41, v17                        // 000000002CC0: D0420018 00022329
	v_cmp_eq_f32_e64 s[26:27], v41, v18                        // 000000002CC8: D042001A 00022529
	v_cmp_eq_f32_e64 s[28:29], v41, v19                        // 000000002CD0: D042001C 00022729
	v_cmp_eq_f32_e64 s[30:31], v41, v20                        // 000000002CD8: D042001E 00022929
	s_ff1_i32_b64 s48, s[24:25]                                // 000000002CE0: BEB01118
	s_ff1_i32_b64 s49, s[26:27]                                // 000000002CE4: BEB1111A
	s_ff1_i32_b64 s50, s[28:29]                                // 000000002CE8: BEB2111C
	s_ff1_i32_b64 s51, s[30:31]                                // 000000002CEC: BEB3111E
	v_cmp_eq_f32_e64 s[32:33], v42, v21                        // 000000002CF0: D0420020 00022B2A
	v_cmp_eq_f32_e64 s[34:35], v42, v22                        // 000000002CF8: D0420022 00022D2A
	v_cmp_eq_f32_e64 s[36:37], v42, v23                        // 000000002D00: D0420024 00022F2A
	v_cmp_eq_f32_e64 s[38:39], v42, v24                        // 000000002D08: D0420026 0002312A
	s_ff1_i32_b64 s52, s[32:33]                                // 000000002D10: BEB41120
	s_ff1_i32_b64 s53, s[34:35]                                // 000000002D14: BEB51122
	s_ff1_i32_b64 s54, s[36:37]                                // 000000002D18: BEB61124
	s_ff1_i32_b64 s55, s[38:39]                                // 000000002D1C: BEB71126
	v_cmp_eq_f32_e64 s[40:41], v43, v25                        // 000000002D20: D0420028 0002332B
	v_cmp_eq_f32_e64 s[42:43], v43, v26                        // 000000002D28: D042002A 0002352B
	v_cmp_eq_f32_e64 s[44:45], v43, v27                        // 000000002D30: D042002C 0002372B
	v_cmp_eq_f32_e64 s[46:47], v43, v28                        // 000000002D38: D042002E 0002392B
	s_ff1_i32_b64 s56, s[40:41]                                // 000000002D40: BEB81128
	s_ff1_i32_b64 s57, s[42:43]                                // 000000002D44: BEB9112A
	s_ff1_i32_b64 s58, s[44:45]                                // 000000002D48: BEBA112C
	s_ff1_i32_b64 s59, s[46:47]                                // 000000002D4C: BEBB112E
	v_readlane_b32 s20, v41, 0                                 // 000000002D50: D2890014 00010129
	v_writelane_b32 v32, s20, 4                                // 000000002D58: D28A0020 00010814
	v_readlane_b32 s21, v42, 0                                 // 000000002D60: D2890015 0001012A
	v_writelane_b32 v33, s21, 4                                // 000000002D68: D28A0021 00010815
	v_readlane_b32 s22, v43, 0                                 // 000000002D70: D2890016 0001012B
	v_writelane_b32 v34, s22, 4                                // 000000002D78: D28A0022 00010816
	s_mov_b32 s22, s48                                         // 000000002D80: BE960030
	s_cmp_eq_u32 s48, -1                                       // 000000002D84: BF06C130
	s_cselect_b32 s21, 1, 0                                    // 000000002D88: 85158081
	s_cbranch_scc0 label_0474                                  // 000000002D8C: BF840010
	s_add_u32 s76, s21, s76                                    // 000000002D90: 804C4C15
	s_mov_b32 s22, s49                                         // 000000002D94: BE960031
	s_cmp_eq_u32 s49, -1                                       // 000000002D98: BF06C131
	s_cselect_b32 s21, 1, 0                                    // 000000002D9C: 85158081
	s_cbranch_scc0 label_0474                                  // 000000002DA0: BF84000B
	s_add_u32 s76, s21, s76                                    // 000000002DA4: 804C4C15
	s_mov_b32 s22, s50                                         // 000000002DA8: BE960032
	s_cmp_eq_u32 s50, -1                                       // 000000002DAC: BF06C132
	s_cselect_b32 s21, 1, 0                                    // 000000002DB0: 85158081
	s_cbranch_scc0 label_0474                                  // 000000002DB4: BF840006
	s_add_u32 s76, s21, s76                                    // 000000002DB8: 804C4C15
	s_mov_b32 s22, s51                                         // 000000002DBC: BE960033
	s_cmp_eq_u32 s51, -1                                       // 000000002DC0: BF06C133
	s_cselect_b32 s21, 1, 0                                    // 000000002DC4: 85158081
	s_cbranch_scc0 label_0474                                  // 000000002DC8: BF840001
	s_add_u32 s76, s21, s76                                    // 000000002DCC: 804C4C15

0000000000002dd0 <label_0474>:
	s_set_gpr_idx_on s76, gpr_idx(DST)                         // 000000002DD0: BF11084C
	v_writelane_b32 v17, 0, s22                                // 000000002DD4: D28A0011 00002C80
	s_set_gpr_idx_off                                          // 000000002DDC: BF9C0000
	s_mul_i32 s76, 64, s76                                     // 000000002DE0: 924C4CC0
	s_add_u32 s76, s22, s76                                    // 000000002DE4: 804C4C16
	v_writelane_b32 v29, s76, 4                                // 000000002DE8: D28A001D 0001084C
	s_mov_b32 s22, s52                                         // 000000002DF0: BE960034
	s_cmp_eq_u32 s52, -1                                       // 000000002DF4: BF06C134
	s_cselect_b32 s21, 1, 0                                    // 000000002DF8: 85158081
	s_cbranch_scc0 label_0490                                  // 000000002DFC: BF840010
	s_add_u32 s84, s21, s84                                    // 000000002E00: 80545415
	s_mov_b32 s22, s53                                         // 000000002E04: BE960035
	s_cmp_eq_u32 s53, -1                                       // 000000002E08: BF06C135
	s_cselect_b32 s21, 1, 0                                    // 000000002E0C: 85158081
	s_cbranch_scc0 label_0490                                  // 000000002E10: BF84000B
	s_add_u32 s84, s21, s84                                    // 000000002E14: 80545415
	s_mov_b32 s22, s54                                         // 000000002E18: BE960036
	s_cmp_eq_u32 s54, -1                                       // 000000002E1C: BF06C136
	s_cselect_b32 s21, 1, 0                                    // 000000002E20: 85158081
	s_cbranch_scc0 label_0490                                  // 000000002E24: BF840006
	s_add_u32 s84, s21, s84                                    // 000000002E28: 80545415
	s_mov_b32 s22, s55                                         // 000000002E2C: BE960037
	s_cmp_eq_u32 s55, -1                                       // 000000002E30: BF06C137
	s_cselect_b32 s21, 1, 0                                    // 000000002E34: 85158081
	s_cbranch_scc0 label_0490                                  // 000000002E38: BF840001
	s_add_u32 s84, s21, s84                                    // 000000002E3C: 80545415

0000000000002e40 <label_0490>:
	s_set_gpr_idx_on s84, gpr_idx(DST)                         // 000000002E40: BF110854
	v_writelane_b32 v21, 0, s22                                // 000000002E44: D28A0015 00002C80
	s_set_gpr_idx_off                                          // 000000002E4C: BF9C0000
	s_mul_i32 s84, 64, s84                                     // 000000002E50: 925454C0
	s_add_u32 s84, s22, s84                                    // 000000002E54: 80545416
	v_writelane_b32 v30, s84, 4                                // 000000002E58: D28A001E 00010854
	s_mov_b32 s22, s56                                         // 000000002E60: BE960038
	s_cmp_eq_u32 s56, -1                                       // 000000002E64: BF06C138
	s_cselect_b32 s21, 1, 0                                    // 000000002E68: 85158081
	s_cbranch_scc0 label_04AC                                  // 000000002E6C: BF840010
	s_add_u32 s92, s21, s92                                    // 000000002E70: 805C5C15
	s_mov_b32 s22, s57                                         // 000000002E74: BE960039
	s_cmp_eq_u32 s57, -1                                       // 000000002E78: BF06C139
	s_cselect_b32 s21, 1, 0                                    // 000000002E7C: 85158081
	s_cbranch_scc0 label_04AC                                  // 000000002E80: BF84000B
	s_add_u32 s92, s21, s92                                    // 000000002E84: 805C5C15
	s_mov_b32 s22, s58                                         // 000000002E88: BE96003A
	s_cmp_eq_u32 s58, -1                                       // 000000002E8C: BF06C13A
	s_cselect_b32 s21, 1, 0                                    // 000000002E90: 85158081
	s_cbranch_scc0 label_04AC                                  // 000000002E94: BF840006
	s_add_u32 s92, s21, s92                                    // 000000002E98: 805C5C15
	s_mov_b32 s22, s59                                         // 000000002E9C: BE96003B
	s_cmp_eq_u32 s59, -1                                       // 000000002EA0: BF06C13B
	s_cselect_b32 s21, 1, 0                                    // 000000002EA4: 85158081
	s_cbranch_scc0 label_04AC                                  // 000000002EA8: BF840001
	s_add_u32 s92, s21, s92                                    // 000000002EAC: 805C5C15

0000000000002eb0 <label_04AC>:
	s_set_gpr_idx_on s92, gpr_idx(DST)                         // 000000002EB0: BF11085C
	v_writelane_b32 v25, 0, s22                                // 000000002EB4: D28A0019 00002C80
	s_set_gpr_idx_off                                          // 000000002EBC: BF9C0000
	s_mul_i32 s92, 64, s92                                     // 000000002EC0: 925C5CC0
	s_add_u32 s92, s22, s92                                    // 000000002EC4: 805C5C16
	v_writelane_b32 v31, s92, 4                                // 000000002EC8: D28A001F 0001085C
	v_max_f32_e32 v41, v17, v18                                // 000000002ED0: 16522511
	v_max3_f32 v41, v41, v19, v20                              // 000000002ED4: D1D30029 04522729
	v_max_f32_e32 v42, v21, v22                                // 000000002EDC: 16542D15
	v_max3_f32 v42, v42, v23, v24                              // 000000002EE0: D1D3002A 04622F2A
	v_max_f32_e32 v43, v25, v26                                // 000000002EE8: 16563519
	v_max3_f32 v43, v43, v27, v28                              // 000000002EEC: D1D3002B 0472372B
	v_max_f32_dpp v4, v41, v41 quad_perm:[1,0,3,2] row_mask:0xf bank_mask:0xf// 000000002EF4: 160852FA FF00B129
	v_max_f32_dpp v5, v42, v42 quad_perm:[1,0,3,2] row_mask:0xf bank_mask:0xf// 000000002EFC: 160A54FA FF00B12A
	v_max_f32_dpp v6, v43, v43 quad_perm:[1,0,3,2] row_mask:0xf bank_mask:0xf// 000000002F04: 160C56FA FF00B12B
	v_max_f32_dpp v4, v4, v4 quad_perm:[2,3,0,1] row_mask:0xf bank_mask:0xf// 000000002F0C: 160808FA FF004E04
	v_max_f32_dpp v5, v5, v5 quad_perm:[2,3,0,1] row_mask:0xf bank_mask:0xf// 000000002F14: 160A0AFA FF004E05
	v_max_f32_dpp v6, v6, v6 quad_perm:[2,3,0,1] row_mask:0xf bank_mask:0xf// 000000002F1C: 160C0CFA FF004E06
	v_max_f32_dpp v4, v4, v4 row_shr:4 row_mask:0xf bank_mask:0xf// 000000002F24: 160808FA FF011404
	v_max_f32_dpp v5, v5, v5 row_shr:4 row_mask:0xf bank_mask:0xf// 000000002F2C: 160A0AFA FF011405
	v_max_f32_dpp v6, v6, v6 row_shr:4 row_mask:0xf bank_mask:0xf// 000000002F34: 160C0CFA FF011406
	v_max_f32_dpp v4, v4, v4 row_shr:8 row_mask:0xf bank_mask:0xf// 000000002F3C: 160808FA FF011804
	v_max_f32_dpp v5, v5, v5 row_shr:8 row_mask:0xf bank_mask:0xf// 000000002F44: 160A0AFA FF011805
	v_max_f32_dpp v6, v6, v6 row_shr:8 row_mask:0xf bank_mask:0xf// 000000002F4C: 160C0CFA FF011806
	v_max_f32_dpp v4, v4, v4 row_bcast:15 row_mask:0xf bank_mask:0xf// 000000002F54: 160808FA FF014204
	v_max_f32_dpp v5, v5, v5 row_bcast:15 row_mask:0xf bank_mask:0xf// 000000002F5C: 160A0AFA FF014205
	v_max_f32_dpp v6, v6, v6 row_bcast:15 row_mask:0xf bank_mask:0xf// 000000002F64: 160C0CFA FF014206
	v_max_f32_dpp v4, v4, v4 row_bcast:31 row_mask:0xf bank_mask:0xf// 000000002F6C: 160808FA FF014304
	v_max_f32_dpp v5, v5, v5 row_bcast:31 row_mask:0xf bank_mask:0xf// 000000002F74: 160A0AFA FF014305
	v_max_f32_dpp v6, v6, v6 row_bcast:31 row_mask:0xf bank_mask:0xf// 000000002F7C: 160C0CFA FF014306
	v_readlane_b32 s20, v4, 63                                 // 000000002F84: D2890014 00017F04
	v_mov_b32_e32 v41, s20                                     // 000000002F8C: 7E520214
	v_readlane_b32 s21, v5, 63                                 // 000000002F90: D2890015 00017F05
	v_mov_b32_e32 v42, s21                                     // 000000002F98: 7E540215
	v_readlane_b32 s22, v6, 63                                 // 000000002F9C: D2890016 00017F06
	v_mov_b32_e32 v43, s22                                     // 000000002FA4: 7E560216
	v_cmp_eq_f32_e64 s[24:25], v41, v17                        // 000000002FA8: D0420018 00022329
	v_cmp_eq_f32_e64 s[26:27], v41, v18                        // 000000002FB0: D042001A 00022529
	v_cmp_eq_f32_e64 s[28:29], v41, v19                        // 000000002FB8: D042001C 00022729
	v_cmp_eq_f32_e64 s[30:31], v41, v20                        // 000000002FC0: D042001E 00022929
	s_ff1_i32_b64 s48, s[24:25]                                // 000000002FC8: BEB01118
	s_ff1_i32_b64 s49, s[26:27]                                // 000000002FCC: BEB1111A
	s_ff1_i32_b64 s50, s[28:29]                                // 000000002FD0: BEB2111C
	s_ff1_i32_b64 s51, s[30:31]                                // 000000002FD4: BEB3111E
	v_cmp_eq_f32_e64 s[32:33], v42, v21                        // 000000002FD8: D0420020 00022B2A
	v_cmp_eq_f32_e64 s[34:35], v42, v22                        // 000000002FE0: D0420022 00022D2A
	v_cmp_eq_f32_e64 s[36:37], v42, v23                        // 000000002FE8: D0420024 00022F2A
	v_cmp_eq_f32_e64 s[38:39], v42, v24                        // 000000002FF0: D0420026 0002312A
	s_ff1_i32_b64 s52, s[32:33]                                // 000000002FF8: BEB41120
	s_ff1_i32_b64 s53, s[34:35]                                // 000000002FFC: BEB51122
	s_ff1_i32_b64 s54, s[36:37]                                // 000000003000: BEB61124
	s_ff1_i32_b64 s55, s[38:39]                                // 000000003004: BEB71126
	v_cmp_eq_f32_e64 s[40:41], v43, v25                        // 000000003008: D0420028 0002332B
	v_cmp_eq_f32_e64 s[42:43], v43, v26                        // 000000003010: D042002A 0002352B
	v_cmp_eq_f32_e64 s[44:45], v43, v27                        // 000000003018: D042002C 0002372B
	v_cmp_eq_f32_e64 s[46:47], v43, v28                        // 000000003020: D042002E 0002392B
	s_ff1_i32_b64 s56, s[40:41]                                // 000000003028: BEB81128
	s_ff1_i32_b64 s57, s[42:43]                                // 00000000302C: BEB9112A
	s_ff1_i32_b64 s58, s[44:45]                                // 000000003030: BEBA112C
	s_ff1_i32_b64 s59, s[46:47]                                // 000000003034: BEBB112E
	v_readlane_b32 s20, v41, 0                                 // 000000003038: D2890014 00010129
	v_writelane_b32 v32, s20, 5                                // 000000003040: D28A0020 00010A14
	v_readlane_b32 s21, v42, 0                                 // 000000003048: D2890015 0001012A
	v_writelane_b32 v33, s21, 5                                // 000000003050: D28A0021 00010A15
	v_readlane_b32 s22, v43, 0                                 // 000000003058: D2890016 0001012B
	v_writelane_b32 v34, s22, 5                                // 000000003060: D28A0022 00010A16
	s_mov_b32 s22, s48                                         // 000000003068: BE960030
	s_cmp_eq_u32 s48, -1                                       // 00000000306C: BF06C130
	s_cselect_b32 s21, 1, 0                                    // 000000003070: 85158081
	s_cbranch_scc0 label_052E                                  // 000000003074: BF840010
	s_add_u32 s77, s21, s77                                    // 000000003078: 804D4D15
	s_mov_b32 s22, s49                                         // 00000000307C: BE960031
	s_cmp_eq_u32 s49, -1                                       // 000000003080: BF06C131
	s_cselect_b32 s21, 1, 0                                    // 000000003084: 85158081
	s_cbranch_scc0 label_052E                                  // 000000003088: BF84000B
	s_add_u32 s77, s21, s77                                    // 00000000308C: 804D4D15
	s_mov_b32 s22, s50                                         // 000000003090: BE960032
	s_cmp_eq_u32 s50, -1                                       // 000000003094: BF06C132
	s_cselect_b32 s21, 1, 0                                    // 000000003098: 85158081
	s_cbranch_scc0 label_052E                                  // 00000000309C: BF840006
	s_add_u32 s77, s21, s77                                    // 0000000030A0: 804D4D15
	s_mov_b32 s22, s51                                         // 0000000030A4: BE960033
	s_cmp_eq_u32 s51, -1                                       // 0000000030A8: BF06C133
	s_cselect_b32 s21, 1, 0                                    // 0000000030AC: 85158081
	s_cbranch_scc0 label_052E                                  // 0000000030B0: BF840001
	s_add_u32 s77, s21, s77                                    // 0000000030B4: 804D4D15

00000000000030b8 <label_052E>:
	s_set_gpr_idx_on s77, gpr_idx(DST)                         // 0000000030B8: BF11084D
	v_writelane_b32 v17, 0, s22                                // 0000000030BC: D28A0011 00002C80
	s_set_gpr_idx_off                                          // 0000000030C4: BF9C0000
	s_mul_i32 s77, 64, s77                                     // 0000000030C8: 924D4DC0
	s_add_u32 s77, s22, s77                                    // 0000000030CC: 804D4D16
	v_writelane_b32 v29, s77, 5                                // 0000000030D0: D28A001D 00010A4D
	s_mov_b32 s22, s52                                         // 0000000030D8: BE960034
	s_cmp_eq_u32 s52, -1                                       // 0000000030DC: BF06C134
	s_cselect_b32 s21, 1, 0                                    // 0000000030E0: 85158081
	s_cbranch_scc0 label_054A                                  // 0000000030E4: BF840010
	s_add_u32 s85, s21, s85                                    // 0000000030E8: 80555515
	s_mov_b32 s22, s53                                         // 0000000030EC: BE960035
	s_cmp_eq_u32 s53, -1                                       // 0000000030F0: BF06C135
	s_cselect_b32 s21, 1, 0                                    // 0000000030F4: 85158081
	s_cbranch_scc0 label_054A                                  // 0000000030F8: BF84000B
	s_add_u32 s85, s21, s85                                    // 0000000030FC: 80555515
	s_mov_b32 s22, s54                                         // 000000003100: BE960036
	s_cmp_eq_u32 s54, -1                                       // 000000003104: BF06C136
	s_cselect_b32 s21, 1, 0                                    // 000000003108: 85158081
	s_cbranch_scc0 label_054A                                  // 00000000310C: BF840006
	s_add_u32 s85, s21, s85                                    // 000000003110: 80555515
	s_mov_b32 s22, s55                                         // 000000003114: BE960037
	s_cmp_eq_u32 s55, -1                                       // 000000003118: BF06C137
	s_cselect_b32 s21, 1, 0                                    // 00000000311C: 85158081
	s_cbranch_scc0 label_054A                                  // 000000003120: BF840001
	s_add_u32 s85, s21, s85                                    // 000000003124: 80555515

0000000000003128 <label_054A>:
	s_set_gpr_idx_on s85, gpr_idx(DST)                         // 000000003128: BF110855
	v_writelane_b32 v21, 0, s22                                // 00000000312C: D28A0015 00002C80
	s_set_gpr_idx_off                                          // 000000003134: BF9C0000
	s_mul_i32 s85, 64, s85                                     // 000000003138: 925555C0
	s_add_u32 s85, s22, s85                                    // 00000000313C: 80555516
	v_writelane_b32 v30, s85, 5                                // 000000003140: D28A001E 00010A55
	s_mov_b32 s22, s56                                         // 000000003148: BE960038
	s_cmp_eq_u32 s56, -1                                       // 00000000314C: BF06C138
	s_cselect_b32 s21, 1, 0                                    // 000000003150: 85158081
	s_cbranch_scc0 label_0566                                  // 000000003154: BF840010
	s_add_u32 s93, s21, s93                                    // 000000003158: 805D5D15
	s_mov_b32 s22, s57                                         // 00000000315C: BE960039
	s_cmp_eq_u32 s57, -1                                       // 000000003160: BF06C139
	s_cselect_b32 s21, 1, 0                                    // 000000003164: 85158081
	s_cbranch_scc0 label_0566                                  // 000000003168: BF84000B
	s_add_u32 s93, s21, s93                                    // 00000000316C: 805D5D15
	s_mov_b32 s22, s58                                         // 000000003170: BE96003A
	s_cmp_eq_u32 s58, -1                                       // 000000003174: BF06C13A
	s_cselect_b32 s21, 1, 0                                    // 000000003178: 85158081
	s_cbranch_scc0 label_0566                                  // 00000000317C: BF840006
	s_add_u32 s93, s21, s93                                    // 000000003180: 805D5D15
	s_mov_b32 s22, s59                                         // 000000003184: BE96003B
	s_cmp_eq_u32 s59, -1                                       // 000000003188: BF06C13B
	s_cselect_b32 s21, 1, 0                                    // 00000000318C: 85158081
	s_cbranch_scc0 label_0566                                  // 000000003190: BF840001
	s_add_u32 s93, s21, s93                                    // 000000003194: 805D5D15

0000000000003198 <label_0566>:
	s_set_gpr_idx_on s93, gpr_idx(DST)                         // 000000003198: BF11085D
	v_writelane_b32 v25, 0, s22                                // 00000000319C: D28A0019 00002C80
	s_set_gpr_idx_off                                          // 0000000031A4: BF9C0000
	s_mul_i32 s93, 64, s93                                     // 0000000031A8: 925D5DC0
	s_add_u32 s93, s22, s93                                    // 0000000031AC: 805D5D16
	v_writelane_b32 v31, s93, 5                                // 0000000031B0: D28A001F 00010A5D
	v_max_f32_e32 v41, v17, v18                                // 0000000031B8: 16522511
	v_max3_f32 v41, v41, v19, v20                              // 0000000031BC: D1D30029 04522729
	v_max_f32_e32 v42, v21, v22                                // 0000000031C4: 16542D15
	v_max3_f32 v42, v42, v23, v24                              // 0000000031C8: D1D3002A 04622F2A
	v_max_f32_e32 v43, v25, v26                                // 0000000031D0: 16563519
	v_max3_f32 v43, v43, v27, v28                              // 0000000031D4: D1D3002B 0472372B
	v_max_f32_dpp v4, v41, v41 quad_perm:[1,0,3,2] row_mask:0xf bank_mask:0xf// 0000000031DC: 160852FA FF00B129
	v_max_f32_dpp v5, v42, v42 quad_perm:[1,0,3,2] row_mask:0xf bank_mask:0xf// 0000000031E4: 160A54FA FF00B12A
	v_max_f32_dpp v6, v43, v43 quad_perm:[1,0,3,2] row_mask:0xf bank_mask:0xf// 0000000031EC: 160C56FA FF00B12B
	v_max_f32_dpp v4, v4, v4 quad_perm:[2,3,0,1] row_mask:0xf bank_mask:0xf// 0000000031F4: 160808FA FF004E04
	v_max_f32_dpp v5, v5, v5 quad_perm:[2,3,0,1] row_mask:0xf bank_mask:0xf// 0000000031FC: 160A0AFA FF004E05
	v_max_f32_dpp v6, v6, v6 quad_perm:[2,3,0,1] row_mask:0xf bank_mask:0xf// 000000003204: 160C0CFA FF004E06
	v_max_f32_dpp v4, v4, v4 row_shr:4 row_mask:0xf bank_mask:0xf// 00000000320C: 160808FA FF011404
	v_max_f32_dpp v5, v5, v5 row_shr:4 row_mask:0xf bank_mask:0xf// 000000003214: 160A0AFA FF011405
	v_max_f32_dpp v6, v6, v6 row_shr:4 row_mask:0xf bank_mask:0xf// 00000000321C: 160C0CFA FF011406
	v_max_f32_dpp v4, v4, v4 row_shr:8 row_mask:0xf bank_mask:0xf// 000000003224: 160808FA FF011804
	v_max_f32_dpp v5, v5, v5 row_shr:8 row_mask:0xf bank_mask:0xf// 00000000322C: 160A0AFA FF011805
	v_max_f32_dpp v6, v6, v6 row_shr:8 row_mask:0xf bank_mask:0xf// 000000003234: 160C0CFA FF011806
	v_max_f32_dpp v4, v4, v4 row_bcast:15 row_mask:0xf bank_mask:0xf// 00000000323C: 160808FA FF014204
	v_max_f32_dpp v5, v5, v5 row_bcast:15 row_mask:0xf bank_mask:0xf// 000000003244: 160A0AFA FF014205
	v_max_f32_dpp v6, v6, v6 row_bcast:15 row_mask:0xf bank_mask:0xf// 00000000324C: 160C0CFA FF014206
	v_max_f32_dpp v4, v4, v4 row_bcast:31 row_mask:0xf bank_mask:0xf// 000000003254: 160808FA FF014304
	v_max_f32_dpp v5, v5, v5 row_bcast:31 row_mask:0xf bank_mask:0xf// 00000000325C: 160A0AFA FF014305
	v_max_f32_dpp v6, v6, v6 row_bcast:31 row_mask:0xf bank_mask:0xf// 000000003264: 160C0CFA FF014306
	v_readlane_b32 s20, v4, 63                                 // 00000000326C: D2890014 00017F04
	v_mov_b32_e32 v41, s20                                     // 000000003274: 7E520214
	v_readlane_b32 s21, v5, 63                                 // 000000003278: D2890015 00017F05
	v_mov_b32_e32 v42, s21                                     // 000000003280: 7E540215
	v_readlane_b32 s22, v6, 63                                 // 000000003284: D2890016 00017F06
	v_mov_b32_e32 v43, s22                                     // 00000000328C: 7E560216
	v_cmp_eq_f32_e64 s[24:25], v41, v17                        // 000000003290: D0420018 00022329
	v_cmp_eq_f32_e64 s[26:27], v41, v18                        // 000000003298: D042001A 00022529
	v_cmp_eq_f32_e64 s[28:29], v41, v19                        // 0000000032A0: D042001C 00022729
	v_cmp_eq_f32_e64 s[30:31], v41, v20                        // 0000000032A8: D042001E 00022929
	s_ff1_i32_b64 s48, s[24:25]                                // 0000000032B0: BEB01118
	s_ff1_i32_b64 s49, s[26:27]                                // 0000000032B4: BEB1111A
	s_ff1_i32_b64 s50, s[28:29]                                // 0000000032B8: BEB2111C
	s_ff1_i32_b64 s51, s[30:31]                                // 0000000032BC: BEB3111E
	v_cmp_eq_f32_e64 s[32:33], v42, v21                        // 0000000032C0: D0420020 00022B2A
	v_cmp_eq_f32_e64 s[34:35], v42, v22                        // 0000000032C8: D0420022 00022D2A
	v_cmp_eq_f32_e64 s[36:37], v42, v23                        // 0000000032D0: D0420024 00022F2A
	v_cmp_eq_f32_e64 s[38:39], v42, v24                        // 0000000032D8: D0420026 0002312A
	s_ff1_i32_b64 s52, s[32:33]                                // 0000000032E0: BEB41120
	s_ff1_i32_b64 s53, s[34:35]                                // 0000000032E4: BEB51122
	s_ff1_i32_b64 s54, s[36:37]                                // 0000000032E8: BEB61124
	s_ff1_i32_b64 s55, s[38:39]                                // 0000000032EC: BEB71126
	v_cmp_eq_f32_e64 s[40:41], v43, v25                        // 0000000032F0: D0420028 0002332B
	v_cmp_eq_f32_e64 s[42:43], v43, v26                        // 0000000032F8: D042002A 0002352B
	v_cmp_eq_f32_e64 s[44:45], v43, v27                        // 000000003300: D042002C 0002372B
	v_cmp_eq_f32_e64 s[46:47], v43, v28                        // 000000003308: D042002E 0002392B
	s_ff1_i32_b64 s56, s[40:41]                                // 000000003310: BEB81128
	s_ff1_i32_b64 s57, s[42:43]                                // 000000003314: BEB9112A
	s_ff1_i32_b64 s58, s[44:45]                                // 000000003318: BEBA112C
	s_ff1_i32_b64 s59, s[46:47]                                // 00000000331C: BEBB112E
	v_readlane_b32 s20, v41, 0                                 // 000000003320: D2890014 00010129
	v_writelane_b32 v32, s20, 6                                // 000000003328: D28A0020 00010C14
	v_readlane_b32 s21, v42, 0                                 // 000000003330: D2890015 0001012A
	v_writelane_b32 v33, s21, 6                                // 000000003338: D28A0021 00010C15
	v_readlane_b32 s22, v43, 0                                 // 000000003340: D2890016 0001012B
	v_writelane_b32 v34, s22, 6                                // 000000003348: D28A0022 00010C16
	s_mov_b32 s22, s48                                         // 000000003350: BE960030
	s_cmp_eq_u32 s48, -1                                       // 000000003354: BF06C130
	s_cselect_b32 s21, 1, 0                                    // 000000003358: 85158081
	s_cbranch_scc0 label_05E8                                  // 00000000335C: BF840010
	s_add_u32 s78, s21, s78                                    // 000000003360: 804E4E15
	s_mov_b32 s22, s49                                         // 000000003364: BE960031
	s_cmp_eq_u32 s49, -1                                       // 000000003368: BF06C131
	s_cselect_b32 s21, 1, 0                                    // 00000000336C: 85158081
	s_cbranch_scc0 label_05E8                                  // 000000003370: BF84000B
	s_add_u32 s78, s21, s78                                    // 000000003374: 804E4E15
	s_mov_b32 s22, s50                                         // 000000003378: BE960032
	s_cmp_eq_u32 s50, -1                                       // 00000000337C: BF06C132
	s_cselect_b32 s21, 1, 0                                    // 000000003380: 85158081
	s_cbranch_scc0 label_05E8                                  // 000000003384: BF840006
	s_add_u32 s78, s21, s78                                    // 000000003388: 804E4E15
	s_mov_b32 s22, s51                                         // 00000000338C: BE960033
	s_cmp_eq_u32 s51, -1                                       // 000000003390: BF06C133
	s_cselect_b32 s21, 1, 0                                    // 000000003394: 85158081
	s_cbranch_scc0 label_05E8                                  // 000000003398: BF840001
	s_add_u32 s78, s21, s78                                    // 00000000339C: 804E4E15

00000000000033a0 <label_05E8>:
	s_set_gpr_idx_on s78, gpr_idx(DST)                         // 0000000033A0: BF11084E
	v_writelane_b32 v17, 0, s22                                // 0000000033A4: D28A0011 00002C80
	s_set_gpr_idx_off                                          // 0000000033AC: BF9C0000
	s_mul_i32 s78, 64, s78                                     // 0000000033B0: 924E4EC0
	s_add_u32 s78, s22, s78                                    // 0000000033B4: 804E4E16
	v_writelane_b32 v29, s78, 6                                // 0000000033B8: D28A001D 00010C4E
	s_mov_b32 s22, s52                                         // 0000000033C0: BE960034
	s_cmp_eq_u32 s52, -1                                       // 0000000033C4: BF06C134
	s_cselect_b32 s21, 1, 0                                    // 0000000033C8: 85158081
	s_cbranch_scc0 label_0604                                  // 0000000033CC: BF840010
	s_add_u32 s86, s21, s86                                    // 0000000033D0: 80565615
	s_mov_b32 s22, s53                                         // 0000000033D4: BE960035
	s_cmp_eq_u32 s53, -1                                       // 0000000033D8: BF06C135
	s_cselect_b32 s21, 1, 0                                    // 0000000033DC: 85158081
	s_cbranch_scc0 label_0604                                  // 0000000033E0: BF84000B
	s_add_u32 s86, s21, s86                                    // 0000000033E4: 80565615
	s_mov_b32 s22, s54                                         // 0000000033E8: BE960036
	s_cmp_eq_u32 s54, -1                                       // 0000000033EC: BF06C136
	s_cselect_b32 s21, 1, 0                                    // 0000000033F0: 85158081
	s_cbranch_scc0 label_0604                                  // 0000000033F4: BF840006
	s_add_u32 s86, s21, s86                                    // 0000000033F8: 80565615
	s_mov_b32 s22, s55                                         // 0000000033FC: BE960037
	s_cmp_eq_u32 s55, -1                                       // 000000003400: BF06C137
	s_cselect_b32 s21, 1, 0                                    // 000000003404: 85158081
	s_cbranch_scc0 label_0604                                  // 000000003408: BF840001
	s_add_u32 s86, s21, s86                                    // 00000000340C: 80565615

0000000000003410 <label_0604>:
	s_set_gpr_idx_on s86, gpr_idx(DST)                         // 000000003410: BF110856
	v_writelane_b32 v21, 0, s22                                // 000000003414: D28A0015 00002C80
	s_set_gpr_idx_off                                          // 00000000341C: BF9C0000
	s_mul_i32 s86, 64, s86                                     // 000000003420: 925656C0
	s_add_u32 s86, s22, s86                                    // 000000003424: 80565616
	v_writelane_b32 v30, s86, 6                                // 000000003428: D28A001E 00010C56
	s_mov_b32 s22, s56                                         // 000000003430: BE960038
	s_cmp_eq_u32 s56, -1                                       // 000000003434: BF06C138
	s_cselect_b32 s21, 1, 0                                    // 000000003438: 85158081
	s_cbranch_scc0 label_0620                                  // 00000000343C: BF840010
	s_add_u32 s94, s21, s94                                    // 000000003440: 805E5E15
	s_mov_b32 s22, s57                                         // 000000003444: BE960039
	s_cmp_eq_u32 s57, -1                                       // 000000003448: BF06C139
	s_cselect_b32 s21, 1, 0                                    // 00000000344C: 85158081
	s_cbranch_scc0 label_0620                                  // 000000003450: BF84000B
	s_add_u32 s94, s21, s94                                    // 000000003454: 805E5E15
	s_mov_b32 s22, s58                                         // 000000003458: BE96003A
	s_cmp_eq_u32 s58, -1                                       // 00000000345C: BF06C13A
	s_cselect_b32 s21, 1, 0                                    // 000000003460: 85158081
	s_cbranch_scc0 label_0620                                  // 000000003464: BF840006
	s_add_u32 s94, s21, s94                                    // 000000003468: 805E5E15
	s_mov_b32 s22, s59                                         // 00000000346C: BE96003B
	s_cmp_eq_u32 s59, -1                                       // 000000003470: BF06C13B
	s_cselect_b32 s21, 1, 0                                    // 000000003474: 85158081
	s_cbranch_scc0 label_0620                                  // 000000003478: BF840001
	s_add_u32 s94, s21, s94                                    // 00000000347C: 805E5E15

0000000000003480 <label_0620>:
	s_set_gpr_idx_on s94, gpr_idx(DST)                         // 000000003480: BF11085E
	v_writelane_b32 v25, 0, s22                                // 000000003484: D28A0019 00002C80
	s_set_gpr_idx_off                                          // 00000000348C: BF9C0000
	s_mul_i32 s94, 64, s94                                     // 000000003490: 925E5EC0
	s_add_u32 s94, s22, s94                                    // 000000003494: 805E5E16
	v_writelane_b32 v31, s94, 6                                // 000000003498: D28A001F 00010C5E
	v_max_f32_e32 v41, v17, v18                                // 0000000034A0: 16522511
	v_max3_f32 v41, v41, v19, v20                              // 0000000034A4: D1D30029 04522729
	v_max_f32_e32 v42, v21, v22                                // 0000000034AC: 16542D15
	v_max3_f32 v42, v42, v23, v24                              // 0000000034B0: D1D3002A 04622F2A
	v_max_f32_e32 v43, v25, v26                                // 0000000034B8: 16563519
	v_max3_f32 v43, v43, v27, v28                              // 0000000034BC: D1D3002B 0472372B
	v_max_f32_dpp v4, v41, v41 quad_perm:[1,0,3,2] row_mask:0xf bank_mask:0xf// 0000000034C4: 160852FA FF00B129
	v_max_f32_dpp v5, v42, v42 quad_perm:[1,0,3,2] row_mask:0xf bank_mask:0xf// 0000000034CC: 160A54FA FF00B12A
	v_max_f32_dpp v6, v43, v43 quad_perm:[1,0,3,2] row_mask:0xf bank_mask:0xf// 0000000034D4: 160C56FA FF00B12B
	v_max_f32_dpp v4, v4, v4 quad_perm:[2,3,0,1] row_mask:0xf bank_mask:0xf// 0000000034DC: 160808FA FF004E04
	v_max_f32_dpp v5, v5, v5 quad_perm:[2,3,0,1] row_mask:0xf bank_mask:0xf// 0000000034E4: 160A0AFA FF004E05
	v_max_f32_dpp v6, v6, v6 quad_perm:[2,3,0,1] row_mask:0xf bank_mask:0xf// 0000000034EC: 160C0CFA FF004E06
	v_max_f32_dpp v4, v4, v4 row_shr:4 row_mask:0xf bank_mask:0xf// 0000000034F4: 160808FA FF011404
	v_max_f32_dpp v5, v5, v5 row_shr:4 row_mask:0xf bank_mask:0xf// 0000000034FC: 160A0AFA FF011405
	v_max_f32_dpp v6, v6, v6 row_shr:4 row_mask:0xf bank_mask:0xf// 000000003504: 160C0CFA FF011406
	v_max_f32_dpp v4, v4, v4 row_shr:8 row_mask:0xf bank_mask:0xf// 00000000350C: 160808FA FF011804
	v_max_f32_dpp v5, v5, v5 row_shr:8 row_mask:0xf bank_mask:0xf// 000000003514: 160A0AFA FF011805
	v_max_f32_dpp v6, v6, v6 row_shr:8 row_mask:0xf bank_mask:0xf// 00000000351C: 160C0CFA FF011806
	v_max_f32_dpp v4, v4, v4 row_bcast:15 row_mask:0xf bank_mask:0xf// 000000003524: 160808FA FF014204
	v_max_f32_dpp v5, v5, v5 row_bcast:15 row_mask:0xf bank_mask:0xf// 00000000352C: 160A0AFA FF014205
	v_max_f32_dpp v6, v6, v6 row_bcast:15 row_mask:0xf bank_mask:0xf// 000000003534: 160C0CFA FF014206
	v_max_f32_dpp v4, v4, v4 row_bcast:31 row_mask:0xf bank_mask:0xf// 00000000353C: 160808FA FF014304
	v_max_f32_dpp v5, v5, v5 row_bcast:31 row_mask:0xf bank_mask:0xf// 000000003544: 160A0AFA FF014305
	v_max_f32_dpp v6, v6, v6 row_bcast:31 row_mask:0xf bank_mask:0xf// 00000000354C: 160C0CFA FF014306
	v_readlane_b32 s20, v4, 63                                 // 000000003554: D2890014 00017F04
	v_mov_b32_e32 v41, s20                                     // 00000000355C: 7E520214
	v_readlane_b32 s21, v5, 63                                 // 000000003560: D2890015 00017F05
	v_mov_b32_e32 v42, s21                                     // 000000003568: 7E540215
	v_readlane_b32 s22, v6, 63                                 // 00000000356C: D2890016 00017F06
	v_mov_b32_e32 v43, s22                                     // 000000003574: 7E560216
	v_cmp_eq_f32_e64 s[24:25], v41, v17                        // 000000003578: D0420018 00022329
	v_cmp_eq_f32_e64 s[26:27], v41, v18                        // 000000003580: D042001A 00022529
	v_cmp_eq_f32_e64 s[28:29], v41, v19                        // 000000003588: D042001C 00022729
	v_cmp_eq_f32_e64 s[30:31], v41, v20                        // 000000003590: D042001E 00022929
	s_ff1_i32_b64 s48, s[24:25]                                // 000000003598: BEB01118
	s_ff1_i32_b64 s49, s[26:27]                                // 00000000359C: BEB1111A
	s_ff1_i32_b64 s50, s[28:29]                                // 0000000035A0: BEB2111C
	s_ff1_i32_b64 s51, s[30:31]                                // 0000000035A4: BEB3111E
	v_cmp_eq_f32_e64 s[32:33], v42, v21                        // 0000000035A8: D0420020 00022B2A
	v_cmp_eq_f32_e64 s[34:35], v42, v22                        // 0000000035B0: D0420022 00022D2A
	v_cmp_eq_f32_e64 s[36:37], v42, v23                        // 0000000035B8: D0420024 00022F2A
	v_cmp_eq_f32_e64 s[38:39], v42, v24                        // 0000000035C0: D0420026 0002312A
	s_ff1_i32_b64 s52, s[32:33]                                // 0000000035C8: BEB41120
	s_ff1_i32_b64 s53, s[34:35]                                // 0000000035CC: BEB51122
	s_ff1_i32_b64 s54, s[36:37]                                // 0000000035D0: BEB61124
	s_ff1_i32_b64 s55, s[38:39]                                // 0000000035D4: BEB71126
	v_cmp_eq_f32_e64 s[40:41], v43, v25                        // 0000000035D8: D0420028 0002332B
	v_cmp_eq_f32_e64 s[42:43], v43, v26                        // 0000000035E0: D042002A 0002352B
	v_cmp_eq_f32_e64 s[44:45], v43, v27                        // 0000000035E8: D042002C 0002372B
	v_cmp_eq_f32_e64 s[46:47], v43, v28                        // 0000000035F0: D042002E 0002392B
	s_ff1_i32_b64 s56, s[40:41]                                // 0000000035F8: BEB81128
	s_ff1_i32_b64 s57, s[42:43]                                // 0000000035FC: BEB9112A
	s_ff1_i32_b64 s58, s[44:45]                                // 000000003600: BEBA112C
	s_ff1_i32_b64 s59, s[46:47]                                // 000000003604: BEBB112E
	v_readlane_b32 s20, v41, 0                                 // 000000003608: D2890014 00010129
	v_writelane_b32 v32, s20, 7                                // 000000003610: D28A0020 00010E14
	v_readlane_b32 s21, v42, 0                                 // 000000003618: D2890015 0001012A
	v_writelane_b32 v33, s21, 7                                // 000000003620: D28A0021 00010E15
	v_readlane_b32 s22, v43, 0                                 // 000000003628: D2890016 0001012B
	v_writelane_b32 v34, s22, 7                                // 000000003630: D28A0022 00010E16
	s_mov_b32 s22, s48                                         // 000000003638: BE960030
	s_cmp_eq_u32 s48, -1                                       // 00000000363C: BF06C130
	s_cselect_b32 s21, 1, 0                                    // 000000003640: 85158081
	s_cbranch_scc0 label_06A2                                  // 000000003644: BF840010
	s_add_u32 s79, s21, s79                                    // 000000003648: 804F4F15
	s_mov_b32 s22, s49                                         // 00000000364C: BE960031
	s_cmp_eq_u32 s49, -1                                       // 000000003650: BF06C131
	s_cselect_b32 s21, 1, 0                                    // 000000003654: 85158081
	s_cbranch_scc0 label_06A2                                  // 000000003658: BF84000B
	s_add_u32 s79, s21, s79                                    // 00000000365C: 804F4F15
	s_mov_b32 s22, s50                                         // 000000003660: BE960032
	s_cmp_eq_u32 s50, -1                                       // 000000003664: BF06C132
	s_cselect_b32 s21, 1, 0                                    // 000000003668: 85158081
	s_cbranch_scc0 label_06A2                                  // 00000000366C: BF840006
	s_add_u32 s79, s21, s79                                    // 000000003670: 804F4F15
	s_mov_b32 s22, s51                                         // 000000003674: BE960033
	s_cmp_eq_u32 s51, -1                                       // 000000003678: BF06C133
	s_cselect_b32 s21, 1, 0                                    // 00000000367C: 85158081
	s_cbranch_scc0 label_06A2                                  // 000000003680: BF840001
	s_add_u32 s79, s21, s79                                    // 000000003684: 804F4F15

0000000000003688 <label_06A2>:
	s_set_gpr_idx_on s79, gpr_idx(DST)                         // 000000003688: BF11084F
	v_writelane_b32 v17, 0, s22                                // 00000000368C: D28A0011 00002C80
	s_set_gpr_idx_off                                          // 000000003694: BF9C0000
	s_mul_i32 s79, 64, s79                                     // 000000003698: 924F4FC0
	s_add_u32 s79, s22, s79                                    // 00000000369C: 804F4F16
	v_writelane_b32 v29, s79, 7                                // 0000000036A0: D28A001D 00010E4F
	s_mov_b32 s22, s52                                         // 0000000036A8: BE960034
	s_cmp_eq_u32 s52, -1                                       // 0000000036AC: BF06C134
	s_cselect_b32 s21, 1, 0                                    // 0000000036B0: 85158081
	s_cbranch_scc0 label_06BE                                  // 0000000036B4: BF840010
	s_add_u32 s87, s21, s87                                    // 0000000036B8: 80575715
	s_mov_b32 s22, s53                                         // 0000000036BC: BE960035
	s_cmp_eq_u32 s53, -1                                       // 0000000036C0: BF06C135
	s_cselect_b32 s21, 1, 0                                    // 0000000036C4: 85158081
	s_cbranch_scc0 label_06BE                                  // 0000000036C8: BF84000B
	s_add_u32 s87, s21, s87                                    // 0000000036CC: 80575715
	s_mov_b32 s22, s54                                         // 0000000036D0: BE960036
	s_cmp_eq_u32 s54, -1                                       // 0000000036D4: BF06C136
	s_cselect_b32 s21, 1, 0                                    // 0000000036D8: 85158081
	s_cbranch_scc0 label_06BE                                  // 0000000036DC: BF840006
	s_add_u32 s87, s21, s87                                    // 0000000036E0: 80575715
	s_mov_b32 s22, s55                                         // 0000000036E4: BE960037
	s_cmp_eq_u32 s55, -1                                       // 0000000036E8: BF06C137
	s_cselect_b32 s21, 1, 0                                    // 0000000036EC: 85158081
	s_cbranch_scc0 label_06BE                                  // 0000000036F0: BF840001
	s_add_u32 s87, s21, s87                                    // 0000000036F4: 80575715

00000000000036f8 <label_06BE>:
	s_set_gpr_idx_on s87, gpr_idx(DST)                         // 0000000036F8: BF110857
	v_writelane_b32 v21, 0, s22                                // 0000000036FC: D28A0015 00002C80
	s_set_gpr_idx_off                                          // 000000003704: BF9C0000
	s_mul_i32 s87, 64, s87                                     // 000000003708: 925757C0
	s_add_u32 s87, s22, s87                                    // 00000000370C: 80575716
	v_writelane_b32 v30, s87, 7                                // 000000003710: D28A001E 00010E57
	s_mov_b32 s22, s56                                         // 000000003718: BE960038
	s_cmp_eq_u32 s56, -1                                       // 00000000371C: BF06C138
	s_cselect_b32 s21, 1, 0                                    // 000000003720: 85158081
	s_cbranch_scc0 label_06DA                                  // 000000003724: BF840010
	s_add_u32 s95, s21, s95                                    // 000000003728: 805F5F15
	s_mov_b32 s22, s57                                         // 00000000372C: BE960039
	s_cmp_eq_u32 s57, -1                                       // 000000003730: BF06C139
	s_cselect_b32 s21, 1, 0                                    // 000000003734: 85158081
	s_cbranch_scc0 label_06DA                                  // 000000003738: BF84000B
	s_add_u32 s95, s21, s95                                    // 00000000373C: 805F5F15
	s_mov_b32 s22, s58                                         // 000000003740: BE96003A
	s_cmp_eq_u32 s58, -1                                       // 000000003744: BF06C13A
	s_cselect_b32 s21, 1, 0                                    // 000000003748: 85158081
	s_cbranch_scc0 label_06DA                                  // 00000000374C: BF840006
	s_add_u32 s95, s21, s95                                    // 000000003750: 805F5F15
	s_mov_b32 s22, s59                                         // 000000003754: BE96003B
	s_cmp_eq_u32 s59, -1                                       // 000000003758: BF06C13B
	s_cselect_b32 s21, 1, 0                                    // 00000000375C: 85158081
	s_cbranch_scc0 label_06DA                                  // 000000003760: BF840001
	s_add_u32 s95, s21, s95                                    // 000000003764: 805F5F15

0000000000003768 <label_06DA>:
	s_set_gpr_idx_on s95, gpr_idx(DST)                         // 000000003768: BF11085F
	v_writelane_b32 v25, 0, s22                                // 00000000376C: D28A0019 00002C80
	s_set_gpr_idx_off                                          // 000000003774: BF9C0000
	s_mul_i32 s95, 64, s95                                     // 000000003778: 925F5FC0
	s_add_u32 s95, s22, s95                                    // 00000000377C: 805F5F16
	v_writelane_b32 v31, s95, 7                                // 000000003780: D28A001F 00010E5F
	s_bfm_b64 exec, s18, 0                                     // 000000003788: 91FE8012
	buffer_store_dword v29, v11, s[4:7], 0 offen               // 00000000378C: E0701000 80011D0B
	buffer_store_dword v30, v12, s[4:7], 0 offen               // 000000003794: E0701000 80011E0C
	buffer_store_dword v31, v13, s[4:7], 0 offen               // 00000000379C: E0701000 80011F0D
	buffer_store_dword v32, v14, s[8:11], 0 offen              // 0000000037A4: E0701000 8002200E
	buffer_store_dword v33, v15, s[8:11], 0 offen              // 0000000037AC: E0701000 8002210F
	buffer_store_dword v34, v16, s[8:11], 0 offen              // 0000000037B4: E0701000 80022210
	s_branch label_0CEB                                        // 0000000037BC: BF8205FB

00000000000037c0 <label_06F0>:
	v_max_f32_e32 v41, v17, v18                                // 0000000037C0: 16522511
	v_max3_f32 v41, v41, v19, v20                              // 0000000037C4: D1D30029 04522729
	v_max_f32_e32 v42, v21, v22                                // 0000000037CC: 16542D15
	v_max3_f32 v42, v42, v23, v24                              // 0000000037D0: D1D3002A 04622F2A
	v_max_f32_e32 v43, v25, v26                                // 0000000037D8: 16563519
	v_max3_f32 v43, v43, v27, v28                              // 0000000037DC: D1D3002B 0472372B
	v_max_f32_dpp v4, v41, v41 quad_perm:[1,0,3,2] row_mask:0xf bank_mask:0xf// 0000000037E4: 160852FA FF00B129
	v_max_f32_dpp v5, v42, v42 quad_perm:[1,0,3,2] row_mask:0xf bank_mask:0xf// 0000000037EC: 160A54FA FF00B12A
	v_max_f32_dpp v6, v43, v43 quad_perm:[1,0,3,2] row_mask:0xf bank_mask:0xf// 0000000037F4: 160C56FA FF00B12B
	v_max_f32_dpp v4, v4, v4 quad_perm:[2,3,0,1] row_mask:0xf bank_mask:0xf// 0000000037FC: 160808FA FF004E04
	v_max_f32_dpp v5, v5, v5 quad_perm:[2,3,0,1] row_mask:0xf bank_mask:0xf// 000000003804: 160A0AFA FF004E05
	v_max_f32_dpp v6, v6, v6 quad_perm:[2,3,0,1] row_mask:0xf bank_mask:0xf// 00000000380C: 160C0CFA FF004E06
	v_max_f32_dpp v4, v4, v4 row_shr:4 row_mask:0xf bank_mask:0xf// 000000003814: 160808FA FF011404
	v_max_f32_dpp v5, v5, v5 row_shr:4 row_mask:0xf bank_mask:0xf// 00000000381C: 160A0AFA FF011405
	v_max_f32_dpp v6, v6, v6 row_shr:4 row_mask:0xf bank_mask:0xf// 000000003824: 160C0CFA FF011406
	v_max_f32_dpp v4, v4, v4 row_shr:8 row_mask:0xf bank_mask:0xf// 00000000382C: 160808FA FF011804
	v_max_f32_dpp v5, v5, v5 row_shr:8 row_mask:0xf bank_mask:0xf// 000000003834: 160A0AFA FF011805
	v_max_f32_dpp v6, v6, v6 row_shr:8 row_mask:0xf bank_mask:0xf// 00000000383C: 160C0CFA FF011806
	v_max_f32_dpp v4, v4, v4 row_bcast:15 row_mask:0xf bank_mask:0xf// 000000003844: 160808FA FF014204
	v_max_f32_dpp v5, v5, v5 row_bcast:15 row_mask:0xf bank_mask:0xf// 00000000384C: 160A0AFA FF014205
	v_max_f32_dpp v6, v6, v6 row_bcast:15 row_mask:0xf bank_mask:0xf// 000000003854: 160C0CFA FF014206
	v_max_f32_dpp v4, v4, v4 row_bcast:31 row_mask:0xf bank_mask:0xf// 00000000385C: 160808FA FF014304
	v_max_f32_dpp v5, v5, v5 row_bcast:31 row_mask:0xf bank_mask:0xf// 000000003864: 160A0AFA FF014305
	v_max_f32_dpp v6, v6, v6 row_bcast:31 row_mask:0xf bank_mask:0xf// 00000000386C: 160C0CFA FF014306
	v_readlane_b32 s20, v4, 63                                 // 000000003874: D2890014 00017F04
	v_mov_b32_e32 v41, s20                                     // 00000000387C: 7E520214
	v_readlane_b32 s21, v5, 63                                 // 000000003880: D2890015 00017F05
	v_mov_b32_e32 v42, s21                                     // 000000003888: 7E540215
	v_readlane_b32 s22, v6, 63                                 // 00000000388C: D2890016 00017F06
	v_mov_b32_e32 v43, s22                                     // 000000003894: 7E560216
	v_add_f32_e32 v47, v47, v41                                // 000000003898: 025E532F
	v_add_f32_e32 v48, v48, v42                                // 00000000389C: 02605530
	v_add_f32_e32 v49, v49, v43                                // 0000000038A0: 02625731
	v_cmp_eq_f32_e64 s[24:25], v41, v17                        // 0000000038A4: D0420018 00022329
	v_cmp_eq_f32_e64 s[26:27], v41, v18                        // 0000000038AC: D042001A 00022529
	v_cmp_eq_f32_e64 s[28:29], v41, v19                        // 0000000038B4: D042001C 00022729
	v_cmp_eq_f32_e64 s[30:31], v41, v20                        // 0000000038BC: D042001E 00022929
	s_ff1_i32_b64 s48, s[24:25]                                // 0000000038C4: BEB01118
	s_ff1_i32_b64 s49, s[26:27]                                // 0000000038C8: BEB1111A
	s_ff1_i32_b64 s50, s[28:29]                                // 0000000038CC: BEB2111C
	s_ff1_i32_b64 s51, s[30:31]                                // 0000000038D0: BEB3111E
	v_cmp_eq_f32_e64 s[32:33], v42, v21                        // 0000000038D4: D0420020 00022B2A
	v_cmp_eq_f32_e64 s[34:35], v42, v22                        // 0000000038DC: D0420022 00022D2A
	v_cmp_eq_f32_e64 s[36:37], v42, v23                        // 0000000038E4: D0420024 00022F2A
	v_cmp_eq_f32_e64 s[38:39], v42, v24                        // 0000000038EC: D0420026 0002312A
	s_ff1_i32_b64 s52, s[32:33]                                // 0000000038F4: BEB41120
	s_ff1_i32_b64 s53, s[34:35]                                // 0000000038F8: BEB51122
	s_ff1_i32_b64 s54, s[36:37]                                // 0000000038FC: BEB61124
	s_ff1_i32_b64 s55, s[38:39]                                // 000000003900: BEB71126
	v_cmp_eq_f32_e64 s[40:41], v43, v25                        // 000000003904: D0420028 0002332B
	v_cmp_eq_f32_e64 s[42:43], v43, v26                        // 00000000390C: D042002A 0002352B
	v_cmp_eq_f32_e64 s[44:45], v43, v27                        // 000000003914: D042002C 0002372B
	v_cmp_eq_f32_e64 s[46:47], v43, v28                        // 00000000391C: D042002E 0002392B
	s_ff1_i32_b64 s56, s[40:41]                                // 000000003924: BEB81128
	s_ff1_i32_b64 s57, s[42:43]                                // 000000003928: BEB9112A
	s_ff1_i32_b64 s58, s[44:45]                                // 00000000392C: BEBA112C
	s_ff1_i32_b64 s59, s[46:47]                                // 000000003930: BEBB112E
	v_readlane_b32 s20, v41, 0                                 // 000000003934: D2890014 00010129
	v_writelane_b32 v32, s20, 0                                // 00000000393C: D28A0020 00010014
	v_readlane_b32 s21, v42, 0                                 // 000000003944: D2890015 0001012A
	v_writelane_b32 v33, s21, 0                                // 00000000394C: D28A0021 00010015
	v_readlane_b32 s22, v43, 0                                 // 000000003954: D2890016 0001012B
	v_writelane_b32 v34, s22, 0                                // 00000000395C: D28A0022 00010016
	s_mov_b32 s22, s48                                         // 000000003964: BE960030
	s_cmp_eq_u32 s48, -1                                       // 000000003968: BF06C130
	s_cselect_b32 s21, 1, 0                                    // 00000000396C: 85158081
	s_cbranch_scc0 label_076D                                  // 000000003970: BF840010
	s_add_u32 s72, s21, s72                                    // 000000003974: 80484815
	s_mov_b32 s22, s49                                         // 000000003978: BE960031
	s_cmp_eq_u32 s49, -1                                       // 00000000397C: BF06C131
	s_cselect_b32 s21, 1, 0                                    // 000000003980: 85158081
	s_cbranch_scc0 label_076D                                  // 000000003984: BF84000B
	s_add_u32 s72, s21, s72                                    // 000000003988: 80484815
	s_mov_b32 s22, s50                                         // 00000000398C: BE960032
	s_cmp_eq_u32 s50, -1                                       // 000000003990: BF06C132
	s_cselect_b32 s21, 1, 0                                    // 000000003994: 85158081
	s_cbranch_scc0 label_076D                                  // 000000003998: BF840006
	s_add_u32 s72, s21, s72                                    // 00000000399C: 80484815
	s_mov_b32 s22, s51                                         // 0000000039A0: BE960033
	s_cmp_eq_u32 s51, -1                                       // 0000000039A4: BF06C133
	s_cselect_b32 s21, 1, 0                                    // 0000000039A8: 85158081
	s_cbranch_scc0 label_076D                                  // 0000000039AC: BF840001
	s_add_u32 s72, s21, s72                                    // 0000000039B0: 80484815

00000000000039b4 <label_076D>:
	s_set_gpr_idx_on s72, gpr_idx(DST)                         // 0000000039B4: BF110848
	v_writelane_b32 v17, 0, s22                                // 0000000039B8: D28A0011 00002C80
	s_set_gpr_idx_off                                          // 0000000039C0: BF9C0000
	s_mul_i32 s72, 64, s72                                     // 0000000039C4: 924848C0
	s_add_u32 s72, s22, s72                                    // 0000000039C8: 80484816
	v_writelane_b32 v29, s72, 0                                // 0000000039CC: D28A001D 00010048
	s_mov_b32 s22, s52                                         // 0000000039D4: BE960034
	s_cmp_eq_u32 s52, -1                                       // 0000000039D8: BF06C134
	s_cselect_b32 s21, 1, 0                                    // 0000000039DC: 85158081
	s_cbranch_scc0 label_0789                                  // 0000000039E0: BF840010
	s_add_u32 s80, s21, s80                                    // 0000000039E4: 80505015
	s_mov_b32 s22, s53                                         // 0000000039E8: BE960035
	s_cmp_eq_u32 s53, -1                                       // 0000000039EC: BF06C135
	s_cselect_b32 s21, 1, 0                                    // 0000000039F0: 85158081
	s_cbranch_scc0 label_0789                                  // 0000000039F4: BF84000B
	s_add_u32 s80, s21, s80                                    // 0000000039F8: 80505015
	s_mov_b32 s22, s54                                         // 0000000039FC: BE960036
	s_cmp_eq_u32 s54, -1                                       // 000000003A00: BF06C136
	s_cselect_b32 s21, 1, 0                                    // 000000003A04: 85158081
	s_cbranch_scc0 label_0789                                  // 000000003A08: BF840006
	s_add_u32 s80, s21, s80                                    // 000000003A0C: 80505015
	s_mov_b32 s22, s55                                         // 000000003A10: BE960037
	s_cmp_eq_u32 s55, -1                                       // 000000003A14: BF06C137
	s_cselect_b32 s21, 1, 0                                    // 000000003A18: 85158081
	s_cbranch_scc0 label_0789                                  // 000000003A1C: BF840001
	s_add_u32 s80, s21, s80                                    // 000000003A20: 80505015

0000000000003a24 <label_0789>:
	s_set_gpr_idx_on s80, gpr_idx(DST)                         // 000000003A24: BF110850
	v_writelane_b32 v21, 0, s22                                // 000000003A28: D28A0015 00002C80
	s_set_gpr_idx_off                                          // 000000003A30: BF9C0000
	s_mul_i32 s80, 64, s80                                     // 000000003A34: 925050C0
	s_add_u32 s80, s22, s80                                    // 000000003A38: 80505016
	v_writelane_b32 v30, s80, 0                                // 000000003A3C: D28A001E 00010050
	s_mov_b32 s22, s56                                         // 000000003A44: BE960038
	s_cmp_eq_u32 s56, -1                                       // 000000003A48: BF06C138
	s_cselect_b32 s21, 1, 0                                    // 000000003A4C: 85158081
	s_cbranch_scc0 label_07A5                                  // 000000003A50: BF840010
	s_add_u32 s88, s21, s88                                    // 000000003A54: 80585815
	s_mov_b32 s22, s57                                         // 000000003A58: BE960039
	s_cmp_eq_u32 s57, -1                                       // 000000003A5C: BF06C139
	s_cselect_b32 s21, 1, 0                                    // 000000003A60: 85158081
	s_cbranch_scc0 label_07A5                                  // 000000003A64: BF84000B
	s_add_u32 s88, s21, s88                                    // 000000003A68: 80585815
	s_mov_b32 s22, s58                                         // 000000003A6C: BE96003A
	s_cmp_eq_u32 s58, -1                                       // 000000003A70: BF06C13A
	s_cselect_b32 s21, 1, 0                                    // 000000003A74: 85158081
	s_cbranch_scc0 label_07A5                                  // 000000003A78: BF840006
	s_add_u32 s88, s21, s88                                    // 000000003A7C: 80585815
	s_mov_b32 s22, s59                                         // 000000003A80: BE96003B
	s_cmp_eq_u32 s59, -1                                       // 000000003A84: BF06C13B
	s_cselect_b32 s21, 1, 0                                    // 000000003A88: 85158081
	s_cbranch_scc0 label_07A5                                  // 000000003A8C: BF840001
	s_add_u32 s88, s21, s88                                    // 000000003A90: 80585815

0000000000003a94 <label_07A5>:
	s_set_gpr_idx_on s88, gpr_idx(DST)                         // 000000003A94: BF110858
	v_writelane_b32 v25, 0, s22                                // 000000003A98: D28A0019 00002C80
	s_set_gpr_idx_off                                          // 000000003AA0: BF9C0000
	s_mul_i32 s88, 64, s88                                     // 000000003AA4: 925858C0
	s_add_u32 s88, s22, s88                                    // 000000003AA8: 80585816
	v_writelane_b32 v31, s88, 0                                // 000000003AAC: D28A001F 00010058
	v_max_f32_e32 v41, v17, v18                                // 000000003AB4: 16522511
	v_max3_f32 v41, v41, v19, v20                              // 000000003AB8: D1D30029 04522729
	v_max_f32_e32 v42, v21, v22                                // 000000003AC0: 16542D15
	v_max3_f32 v42, v42, v23, v24                              // 000000003AC4: D1D3002A 04622F2A
	v_max_f32_e32 v43, v25, v26                                // 000000003ACC: 16563519
	v_max3_f32 v43, v43, v27, v28                              // 000000003AD0: D1D3002B 0472372B
	v_max_f32_dpp v4, v41, v41 quad_perm:[1,0,3,2] row_mask:0xf bank_mask:0xf// 000000003AD8: 160852FA FF00B129
	v_max_f32_dpp v5, v42, v42 quad_perm:[1,0,3,2] row_mask:0xf bank_mask:0xf// 000000003AE0: 160A54FA FF00B12A
	v_max_f32_dpp v6, v43, v43 quad_perm:[1,0,3,2] row_mask:0xf bank_mask:0xf// 000000003AE8: 160C56FA FF00B12B
	v_max_f32_dpp v4, v4, v4 quad_perm:[2,3,0,1] row_mask:0xf bank_mask:0xf// 000000003AF0: 160808FA FF004E04
	v_max_f32_dpp v5, v5, v5 quad_perm:[2,3,0,1] row_mask:0xf bank_mask:0xf// 000000003AF8: 160A0AFA FF004E05
	v_max_f32_dpp v6, v6, v6 quad_perm:[2,3,0,1] row_mask:0xf bank_mask:0xf// 000000003B00: 160C0CFA FF004E06
	v_max_f32_dpp v4, v4, v4 row_shr:4 row_mask:0xf bank_mask:0xf// 000000003B08: 160808FA FF011404
	v_max_f32_dpp v5, v5, v5 row_shr:4 row_mask:0xf bank_mask:0xf// 000000003B10: 160A0AFA FF011405
	v_max_f32_dpp v6, v6, v6 row_shr:4 row_mask:0xf bank_mask:0xf// 000000003B18: 160C0CFA FF011406
	v_max_f32_dpp v4, v4, v4 row_shr:8 row_mask:0xf bank_mask:0xf// 000000003B20: 160808FA FF011804
	v_max_f32_dpp v5, v5, v5 row_shr:8 row_mask:0xf bank_mask:0xf// 000000003B28: 160A0AFA FF011805
	v_max_f32_dpp v6, v6, v6 row_shr:8 row_mask:0xf bank_mask:0xf// 000000003B30: 160C0CFA FF011806
	v_max_f32_dpp v4, v4, v4 row_bcast:15 row_mask:0xf bank_mask:0xf// 000000003B38: 160808FA FF014204
	v_max_f32_dpp v5, v5, v5 row_bcast:15 row_mask:0xf bank_mask:0xf// 000000003B40: 160A0AFA FF014205
	v_max_f32_dpp v6, v6, v6 row_bcast:15 row_mask:0xf bank_mask:0xf// 000000003B48: 160C0CFA FF014206
	v_max_f32_dpp v4, v4, v4 row_bcast:31 row_mask:0xf bank_mask:0xf// 000000003B50: 160808FA FF014304
	v_max_f32_dpp v5, v5, v5 row_bcast:31 row_mask:0xf bank_mask:0xf// 000000003B58: 160A0AFA FF014305
	v_max_f32_dpp v6, v6, v6 row_bcast:31 row_mask:0xf bank_mask:0xf// 000000003B60: 160C0CFA FF014306
	v_readlane_b32 s20, v4, 63                                 // 000000003B68: D2890014 00017F04
	v_mov_b32_e32 v41, s20                                     // 000000003B70: 7E520214
	v_readlane_b32 s21, v5, 63                                 // 000000003B74: D2890015 00017F05
	v_mov_b32_e32 v42, s21                                     // 000000003B7C: 7E540215
	v_readlane_b32 s22, v6, 63                                 // 000000003B80: D2890016 00017F06
	v_mov_b32_e32 v43, s22                                     // 000000003B88: 7E560216
	v_add_f32_e32 v47, v47, v41                                // 000000003B8C: 025E532F
	v_add_f32_e32 v48, v48, v42                                // 000000003B90: 02605530
	v_add_f32_e32 v49, v49, v43                                // 000000003B94: 02625731
	v_cmp_eq_f32_e64 s[24:25], v41, v17                        // 000000003B98: D0420018 00022329
	v_cmp_eq_f32_e64 s[26:27], v41, v18                        // 000000003BA0: D042001A 00022529
	v_cmp_eq_f32_e64 s[28:29], v41, v19                        // 000000003BA8: D042001C 00022729
	v_cmp_eq_f32_e64 s[30:31], v41, v20                        // 000000003BB0: D042001E 00022929
	s_ff1_i32_b64 s48, s[24:25]                                // 000000003BB8: BEB01118
	s_ff1_i32_b64 s49, s[26:27]                                // 000000003BBC: BEB1111A
	s_ff1_i32_b64 s50, s[28:29]                                // 000000003BC0: BEB2111C
	s_ff1_i32_b64 s51, s[30:31]                                // 000000003BC4: BEB3111E
	v_cmp_eq_f32_e64 s[32:33], v42, v21                        // 000000003BC8: D0420020 00022B2A
	v_cmp_eq_f32_e64 s[34:35], v42, v22                        // 000000003BD0: D0420022 00022D2A
	v_cmp_eq_f32_e64 s[36:37], v42, v23                        // 000000003BD8: D0420024 00022F2A
	v_cmp_eq_f32_e64 s[38:39], v42, v24                        // 000000003BE0: D0420026 0002312A
	s_ff1_i32_b64 s52, s[32:33]                                // 000000003BE8: BEB41120
	s_ff1_i32_b64 s53, s[34:35]                                // 000000003BEC: BEB51122
	s_ff1_i32_b64 s54, s[36:37]                                // 000000003BF0: BEB61124
	s_ff1_i32_b64 s55, s[38:39]                                // 000000003BF4: BEB71126
	v_cmp_eq_f32_e64 s[40:41], v43, v25                        // 000000003BF8: D0420028 0002332B
	v_cmp_eq_f32_e64 s[42:43], v43, v26                        // 000000003C00: D042002A 0002352B
	v_cmp_eq_f32_e64 s[44:45], v43, v27                        // 000000003C08: D042002C 0002372B
	v_cmp_eq_f32_e64 s[46:47], v43, v28                        // 000000003C10: D042002E 0002392B
	s_ff1_i32_b64 s56, s[40:41]                                // 000000003C18: BEB81128
	s_ff1_i32_b64 s57, s[42:43]                                // 000000003C1C: BEB9112A
	s_ff1_i32_b64 s58, s[44:45]                                // 000000003C20: BEBA112C
	s_ff1_i32_b64 s59, s[46:47]                                // 000000003C24: BEBB112E
	v_readlane_b32 s20, v41, 0                                 // 000000003C28: D2890014 00010129
	v_writelane_b32 v32, s20, 1                                // 000000003C30: D28A0020 00010214
	v_readlane_b32 s21, v42, 0                                 // 000000003C38: D2890015 0001012A
	v_writelane_b32 v33, s21, 1                                // 000000003C40: D28A0021 00010215
	v_readlane_b32 s22, v43, 0                                 // 000000003C48: D2890016 0001012B
	v_writelane_b32 v34, s22, 1                                // 000000003C50: D28A0022 00010216
	s_mov_b32 s22, s48                                         // 000000003C58: BE960030
	s_cmp_eq_u32 s48, -1                                       // 000000003C5C: BF06C130
	s_cselect_b32 s21, 1, 0                                    // 000000003C60: 85158081
	s_cbranch_scc0 label_082A                                  // 000000003C64: BF840010
	s_add_u32 s73, s21, s73                                    // 000000003C68: 80494915
	s_mov_b32 s22, s49                                         // 000000003C6C: BE960031
	s_cmp_eq_u32 s49, -1                                       // 000000003C70: BF06C131
	s_cselect_b32 s21, 1, 0                                    // 000000003C74: 85158081
	s_cbranch_scc0 label_082A                                  // 000000003C78: BF84000B
	s_add_u32 s73, s21, s73                                    // 000000003C7C: 80494915
	s_mov_b32 s22, s50                                         // 000000003C80: BE960032
	s_cmp_eq_u32 s50, -1                                       // 000000003C84: BF06C132
	s_cselect_b32 s21, 1, 0                                    // 000000003C88: 85158081
	s_cbranch_scc0 label_082A                                  // 000000003C8C: BF840006
	s_add_u32 s73, s21, s73                                    // 000000003C90: 80494915
	s_mov_b32 s22, s51                                         // 000000003C94: BE960033
	s_cmp_eq_u32 s51, -1                                       // 000000003C98: BF06C133
	s_cselect_b32 s21, 1, 0                                    // 000000003C9C: 85158081
	s_cbranch_scc0 label_082A                                  // 000000003CA0: BF840001
	s_add_u32 s73, s21, s73                                    // 000000003CA4: 80494915

0000000000003ca8 <label_082A>:
	s_set_gpr_idx_on s73, gpr_idx(DST)                         // 000000003CA8: BF110849
	v_writelane_b32 v17, 0, s22                                // 000000003CAC: D28A0011 00002C80
	s_set_gpr_idx_off                                          // 000000003CB4: BF9C0000
	s_mul_i32 s73, 64, s73                                     // 000000003CB8: 924949C0
	s_add_u32 s73, s22, s73                                    // 000000003CBC: 80494916
	v_writelane_b32 v29, s73, 1                                // 000000003CC0: D28A001D 00010249
	s_mov_b32 s22, s52                                         // 000000003CC8: BE960034
	s_cmp_eq_u32 s52, -1                                       // 000000003CCC: BF06C134
	s_cselect_b32 s21, 1, 0                                    // 000000003CD0: 85158081
	s_cbranch_scc0 label_0846                                  // 000000003CD4: BF840010
	s_add_u32 s81, s21, s81                                    // 000000003CD8: 80515115
	s_mov_b32 s22, s53                                         // 000000003CDC: BE960035
	s_cmp_eq_u32 s53, -1                                       // 000000003CE0: BF06C135
	s_cselect_b32 s21, 1, 0                                    // 000000003CE4: 85158081
	s_cbranch_scc0 label_0846                                  // 000000003CE8: BF84000B
	s_add_u32 s81, s21, s81                                    // 000000003CEC: 80515115
	s_mov_b32 s22, s54                                         // 000000003CF0: BE960036
	s_cmp_eq_u32 s54, -1                                       // 000000003CF4: BF06C136
	s_cselect_b32 s21, 1, 0                                    // 000000003CF8: 85158081
	s_cbranch_scc0 label_0846                                  // 000000003CFC: BF840006
	s_add_u32 s81, s21, s81                                    // 000000003D00: 80515115
	s_mov_b32 s22, s55                                         // 000000003D04: BE960037
	s_cmp_eq_u32 s55, -1                                       // 000000003D08: BF06C137
	s_cselect_b32 s21, 1, 0                                    // 000000003D0C: 85158081
	s_cbranch_scc0 label_0846                                  // 000000003D10: BF840001
	s_add_u32 s81, s21, s81                                    // 000000003D14: 80515115

0000000000003d18 <label_0846>:
	s_set_gpr_idx_on s81, gpr_idx(DST)                         // 000000003D18: BF110851
	v_writelane_b32 v21, 0, s22                                // 000000003D1C: D28A0015 00002C80
	s_set_gpr_idx_off                                          // 000000003D24: BF9C0000
	s_mul_i32 s81, 64, s81                                     // 000000003D28: 925151C0
	s_add_u32 s81, s22, s81                                    // 000000003D2C: 80515116
	v_writelane_b32 v30, s81, 1                                // 000000003D30: D28A001E 00010251
	s_mov_b32 s22, s56                                         // 000000003D38: BE960038
	s_cmp_eq_u32 s56, -1                                       // 000000003D3C: BF06C138
	s_cselect_b32 s21, 1, 0                                    // 000000003D40: 85158081
	s_cbranch_scc0 label_0862                                  // 000000003D44: BF840010
	s_add_u32 s89, s21, s89                                    // 000000003D48: 80595915
	s_mov_b32 s22, s57                                         // 000000003D4C: BE960039
	s_cmp_eq_u32 s57, -1                                       // 000000003D50: BF06C139
	s_cselect_b32 s21, 1, 0                                    // 000000003D54: 85158081
	s_cbranch_scc0 label_0862                                  // 000000003D58: BF84000B
	s_add_u32 s89, s21, s89                                    // 000000003D5C: 80595915
	s_mov_b32 s22, s58                                         // 000000003D60: BE96003A
	s_cmp_eq_u32 s58, -1                                       // 000000003D64: BF06C13A
	s_cselect_b32 s21, 1, 0                                    // 000000003D68: 85158081
	s_cbranch_scc0 label_0862                                  // 000000003D6C: BF840006
	s_add_u32 s89, s21, s89                                    // 000000003D70: 80595915
	s_mov_b32 s22, s59                                         // 000000003D74: BE96003B
	s_cmp_eq_u32 s59, -1                                       // 000000003D78: BF06C13B
	s_cselect_b32 s21, 1, 0                                    // 000000003D7C: 85158081
	s_cbranch_scc0 label_0862                                  // 000000003D80: BF840001
	s_add_u32 s89, s21, s89                                    // 000000003D84: 80595915

0000000000003d88 <label_0862>:
	s_set_gpr_idx_on s89, gpr_idx(DST)                         // 000000003D88: BF110859
	v_writelane_b32 v25, 0, s22                                // 000000003D8C: D28A0019 00002C80
	s_set_gpr_idx_off                                          // 000000003D94: BF9C0000
	s_mul_i32 s89, 64, s89                                     // 000000003D98: 925959C0
	s_add_u32 s89, s22, s89                                    // 000000003D9C: 80595916
	v_writelane_b32 v31, s89, 1                                // 000000003DA0: D28A001F 00010259
	v_max_f32_e32 v41, v17, v18                                // 000000003DA8: 16522511
	v_max3_f32 v41, v41, v19, v20                              // 000000003DAC: D1D30029 04522729
	v_max_f32_e32 v42, v21, v22                                // 000000003DB4: 16542D15
	v_max3_f32 v42, v42, v23, v24                              // 000000003DB8: D1D3002A 04622F2A
	v_max_f32_e32 v43, v25, v26                                // 000000003DC0: 16563519
	v_max3_f32 v43, v43, v27, v28                              // 000000003DC4: D1D3002B 0472372B
	v_max_f32_dpp v4, v41, v41 quad_perm:[1,0,3,2] row_mask:0xf bank_mask:0xf// 000000003DCC: 160852FA FF00B129
	v_max_f32_dpp v5, v42, v42 quad_perm:[1,0,3,2] row_mask:0xf bank_mask:0xf// 000000003DD4: 160A54FA FF00B12A
	v_max_f32_dpp v6, v43, v43 quad_perm:[1,0,3,2] row_mask:0xf bank_mask:0xf// 000000003DDC: 160C56FA FF00B12B
	v_max_f32_dpp v4, v4, v4 quad_perm:[2,3,0,1] row_mask:0xf bank_mask:0xf// 000000003DE4: 160808FA FF004E04
	v_max_f32_dpp v5, v5, v5 quad_perm:[2,3,0,1] row_mask:0xf bank_mask:0xf// 000000003DEC: 160A0AFA FF004E05
	v_max_f32_dpp v6, v6, v6 quad_perm:[2,3,0,1] row_mask:0xf bank_mask:0xf// 000000003DF4: 160C0CFA FF004E06
	v_max_f32_dpp v4, v4, v4 row_shr:4 row_mask:0xf bank_mask:0xf// 000000003DFC: 160808FA FF011404
	v_max_f32_dpp v5, v5, v5 row_shr:4 row_mask:0xf bank_mask:0xf// 000000003E04: 160A0AFA FF011405
	v_max_f32_dpp v6, v6, v6 row_shr:4 row_mask:0xf bank_mask:0xf// 000000003E0C: 160C0CFA FF011406
	v_max_f32_dpp v4, v4, v4 row_shr:8 row_mask:0xf bank_mask:0xf// 000000003E14: 160808FA FF011804
	v_max_f32_dpp v5, v5, v5 row_shr:8 row_mask:0xf bank_mask:0xf// 000000003E1C: 160A0AFA FF011805
	v_max_f32_dpp v6, v6, v6 row_shr:8 row_mask:0xf bank_mask:0xf// 000000003E24: 160C0CFA FF011806
	v_max_f32_dpp v4, v4, v4 row_bcast:15 row_mask:0xf bank_mask:0xf// 000000003E2C: 160808FA FF014204
	v_max_f32_dpp v5, v5, v5 row_bcast:15 row_mask:0xf bank_mask:0xf// 000000003E34: 160A0AFA FF014205
	v_max_f32_dpp v6, v6, v6 row_bcast:15 row_mask:0xf bank_mask:0xf// 000000003E3C: 160C0CFA FF014206
	v_max_f32_dpp v4, v4, v4 row_bcast:31 row_mask:0xf bank_mask:0xf// 000000003E44: 160808FA FF014304
	v_max_f32_dpp v5, v5, v5 row_bcast:31 row_mask:0xf bank_mask:0xf// 000000003E4C: 160A0AFA FF014305
	v_max_f32_dpp v6, v6, v6 row_bcast:31 row_mask:0xf bank_mask:0xf// 000000003E54: 160C0CFA FF014306
	v_readlane_b32 s20, v4, 63                                 // 000000003E5C: D2890014 00017F04
	v_mov_b32_e32 v41, s20                                     // 000000003E64: 7E520214
	v_readlane_b32 s21, v5, 63                                 // 000000003E68: D2890015 00017F05
	v_mov_b32_e32 v42, s21                                     // 000000003E70: 7E540215
	v_readlane_b32 s22, v6, 63                                 // 000000003E74: D2890016 00017F06
	v_mov_b32_e32 v43, s22                                     // 000000003E7C: 7E560216
	v_add_f32_e32 v47, v47, v41                                // 000000003E80: 025E532F
	v_add_f32_e32 v48, v48, v42                                // 000000003E84: 02605530
	v_add_f32_e32 v49, v49, v43                                // 000000003E88: 02625731
	v_cmp_eq_f32_e64 s[24:25], v41, v17                        // 000000003E8C: D0420018 00022329
	v_cmp_eq_f32_e64 s[26:27], v41, v18                        // 000000003E94: D042001A 00022529
	v_cmp_eq_f32_e64 s[28:29], v41, v19                        // 000000003E9C: D042001C 00022729
	v_cmp_eq_f32_e64 s[30:31], v41, v20                        // 000000003EA4: D042001E 00022929
	s_ff1_i32_b64 s48, s[24:25]                                // 000000003EAC: BEB01118
	s_ff1_i32_b64 s49, s[26:27]                                // 000000003EB0: BEB1111A
	s_ff1_i32_b64 s50, s[28:29]                                // 000000003EB4: BEB2111C
	s_ff1_i32_b64 s51, s[30:31]                                // 000000003EB8: BEB3111E
	v_cmp_eq_f32_e64 s[32:33], v42, v21                        // 000000003EBC: D0420020 00022B2A
	v_cmp_eq_f32_e64 s[34:35], v42, v22                        // 000000003EC4: D0420022 00022D2A
	v_cmp_eq_f32_e64 s[36:37], v42, v23                        // 000000003ECC: D0420024 00022F2A
	v_cmp_eq_f32_e64 s[38:39], v42, v24                        // 000000003ED4: D0420026 0002312A
	s_ff1_i32_b64 s52, s[32:33]                                // 000000003EDC: BEB41120
	s_ff1_i32_b64 s53, s[34:35]                                // 000000003EE0: BEB51122
	s_ff1_i32_b64 s54, s[36:37]                                // 000000003EE4: BEB61124
	s_ff1_i32_b64 s55, s[38:39]                                // 000000003EE8: BEB71126
	v_cmp_eq_f32_e64 s[40:41], v43, v25                        // 000000003EEC: D0420028 0002332B
	v_cmp_eq_f32_e64 s[42:43], v43, v26                        // 000000003EF4: D042002A 0002352B
	v_cmp_eq_f32_e64 s[44:45], v43, v27                        // 000000003EFC: D042002C 0002372B
	v_cmp_eq_f32_e64 s[46:47], v43, v28                        // 000000003F04: D042002E 0002392B
	s_ff1_i32_b64 s56, s[40:41]                                // 000000003F0C: BEB81128
	s_ff1_i32_b64 s57, s[42:43]                                // 000000003F10: BEB9112A
	s_ff1_i32_b64 s58, s[44:45]                                // 000000003F14: BEBA112C
	s_ff1_i32_b64 s59, s[46:47]                                // 000000003F18: BEBB112E
	v_readlane_b32 s20, v41, 0                                 // 000000003F1C: D2890014 00010129
	v_writelane_b32 v32, s20, 2                                // 000000003F24: D28A0020 00010414
	v_readlane_b32 s21, v42, 0                                 // 000000003F2C: D2890015 0001012A
	v_writelane_b32 v33, s21, 2                                // 000000003F34: D28A0021 00010415
	v_readlane_b32 s22, v43, 0                                 // 000000003F3C: D2890016 0001012B
	v_writelane_b32 v34, s22, 2                                // 000000003F44: D28A0022 00010416
	s_mov_b32 s22, s48                                         // 000000003F4C: BE960030
	s_cmp_eq_u32 s48, -1                                       // 000000003F50: BF06C130
	s_cselect_b32 s21, 1, 0                                    // 000000003F54: 85158081
	s_cbranch_scc0 label_08E7                                  // 000000003F58: BF840010
	s_add_u32 s74, s21, s74                                    // 000000003F5C: 804A4A15
	s_mov_b32 s22, s49                                         // 000000003F60: BE960031
	s_cmp_eq_u32 s49, -1                                       // 000000003F64: BF06C131
	s_cselect_b32 s21, 1, 0                                    // 000000003F68: 85158081
	s_cbranch_scc0 label_08E7                                  // 000000003F6C: BF84000B
	s_add_u32 s74, s21, s74                                    // 000000003F70: 804A4A15
	s_mov_b32 s22, s50                                         // 000000003F74: BE960032
	s_cmp_eq_u32 s50, -1                                       // 000000003F78: BF06C132
	s_cselect_b32 s21, 1, 0                                    // 000000003F7C: 85158081
	s_cbranch_scc0 label_08E7                                  // 000000003F80: BF840006
	s_add_u32 s74, s21, s74                                    // 000000003F84: 804A4A15
	s_mov_b32 s22, s51                                         // 000000003F88: BE960033
	s_cmp_eq_u32 s51, -1                                       // 000000003F8C: BF06C133
	s_cselect_b32 s21, 1, 0                                    // 000000003F90: 85158081
	s_cbranch_scc0 label_08E7                                  // 000000003F94: BF840001
	s_add_u32 s74, s21, s74                                    // 000000003F98: 804A4A15

0000000000003f9c <label_08E7>:
	s_set_gpr_idx_on s74, gpr_idx(DST)                         // 000000003F9C: BF11084A
	v_writelane_b32 v17, 0, s22                                // 000000003FA0: D28A0011 00002C80
	s_set_gpr_idx_off                                          // 000000003FA8: BF9C0000
	s_mul_i32 s74, 64, s74                                     // 000000003FAC: 924A4AC0
	s_add_u32 s74, s22, s74                                    // 000000003FB0: 804A4A16
	v_writelane_b32 v29, s74, 2                                // 000000003FB4: D28A001D 0001044A
	s_mov_b32 s22, s52                                         // 000000003FBC: BE960034
	s_cmp_eq_u32 s52, -1                                       // 000000003FC0: BF06C134
	s_cselect_b32 s21, 1, 0                                    // 000000003FC4: 85158081
	s_cbranch_scc0 label_0903                                  // 000000003FC8: BF840010
	s_add_u32 s82, s21, s82                                    // 000000003FCC: 80525215
	s_mov_b32 s22, s53                                         // 000000003FD0: BE960035
	s_cmp_eq_u32 s53, -1                                       // 000000003FD4: BF06C135
	s_cselect_b32 s21, 1, 0                                    // 000000003FD8: 85158081
	s_cbranch_scc0 label_0903                                  // 000000003FDC: BF84000B
	s_add_u32 s82, s21, s82                                    // 000000003FE0: 80525215
	s_mov_b32 s22, s54                                         // 000000003FE4: BE960036
	s_cmp_eq_u32 s54, -1                                       // 000000003FE8: BF06C136
	s_cselect_b32 s21, 1, 0                                    // 000000003FEC: 85158081
	s_cbranch_scc0 label_0903                                  // 000000003FF0: BF840006
	s_add_u32 s82, s21, s82                                    // 000000003FF4: 80525215
	s_mov_b32 s22, s55                                         // 000000003FF8: BE960037
	s_cmp_eq_u32 s55, -1                                       // 000000003FFC: BF06C137
	s_cselect_b32 s21, 1, 0                                    // 000000004000: 85158081
	s_cbranch_scc0 label_0903                                  // 000000004004: BF840001
	s_add_u32 s82, s21, s82                                    // 000000004008: 80525215

000000000000400c <label_0903>:
	s_set_gpr_idx_on s82, gpr_idx(DST)                         // 00000000400C: BF110852
	v_writelane_b32 v21, 0, s22                                // 000000004010: D28A0015 00002C80
	s_set_gpr_idx_off                                          // 000000004018: BF9C0000
	s_mul_i32 s82, 64, s82                                     // 00000000401C: 925252C0
	s_add_u32 s82, s22, s82                                    // 000000004020: 80525216
	v_writelane_b32 v30, s82, 2                                // 000000004024: D28A001E 00010452
	s_mov_b32 s22, s56                                         // 00000000402C: BE960038
	s_cmp_eq_u32 s56, -1                                       // 000000004030: BF06C138
	s_cselect_b32 s21, 1, 0                                    // 000000004034: 85158081
	s_cbranch_scc0 label_091F                                  // 000000004038: BF840010
	s_add_u32 s90, s21, s90                                    // 00000000403C: 805A5A15
	s_mov_b32 s22, s57                                         // 000000004040: BE960039
	s_cmp_eq_u32 s57, -1                                       // 000000004044: BF06C139
	s_cselect_b32 s21, 1, 0                                    // 000000004048: 85158081
	s_cbranch_scc0 label_091F                                  // 00000000404C: BF84000B
	s_add_u32 s90, s21, s90                                    // 000000004050: 805A5A15
	s_mov_b32 s22, s58                                         // 000000004054: BE96003A
	s_cmp_eq_u32 s58, -1                                       // 000000004058: BF06C13A
	s_cselect_b32 s21, 1, 0                                    // 00000000405C: 85158081
	s_cbranch_scc0 label_091F                                  // 000000004060: BF840006
	s_add_u32 s90, s21, s90                                    // 000000004064: 805A5A15
	s_mov_b32 s22, s59                                         // 000000004068: BE96003B
	s_cmp_eq_u32 s59, -1                                       // 00000000406C: BF06C13B
	s_cselect_b32 s21, 1, 0                                    // 000000004070: 85158081
	s_cbranch_scc0 label_091F                                  // 000000004074: BF840001
	s_add_u32 s90, s21, s90                                    // 000000004078: 805A5A15

000000000000407c <label_091F>:
	s_set_gpr_idx_on s90, gpr_idx(DST)                         // 00000000407C: BF11085A
	v_writelane_b32 v25, 0, s22                                // 000000004080: D28A0019 00002C80
	s_set_gpr_idx_off                                          // 000000004088: BF9C0000
	s_mul_i32 s90, 64, s90                                     // 00000000408C: 925A5AC0
	s_add_u32 s90, s22, s90                                    // 000000004090: 805A5A16
	v_writelane_b32 v31, s90, 2                                // 000000004094: D28A001F 0001045A
	v_max_f32_e32 v41, v17, v18                                // 00000000409C: 16522511
	v_max3_f32 v41, v41, v19, v20                              // 0000000040A0: D1D30029 04522729
	v_max_f32_e32 v42, v21, v22                                // 0000000040A8: 16542D15
	v_max3_f32 v42, v42, v23, v24                              // 0000000040AC: D1D3002A 04622F2A
	v_max_f32_e32 v43, v25, v26                                // 0000000040B4: 16563519
	v_max3_f32 v43, v43, v27, v28                              // 0000000040B8: D1D3002B 0472372B
	v_max_f32_dpp v4, v41, v41 quad_perm:[1,0,3,2] row_mask:0xf bank_mask:0xf// 0000000040C0: 160852FA FF00B129
	v_max_f32_dpp v5, v42, v42 quad_perm:[1,0,3,2] row_mask:0xf bank_mask:0xf// 0000000040C8: 160A54FA FF00B12A
	v_max_f32_dpp v6, v43, v43 quad_perm:[1,0,3,2] row_mask:0xf bank_mask:0xf// 0000000040D0: 160C56FA FF00B12B
	v_max_f32_dpp v4, v4, v4 quad_perm:[2,3,0,1] row_mask:0xf bank_mask:0xf// 0000000040D8: 160808FA FF004E04
	v_max_f32_dpp v5, v5, v5 quad_perm:[2,3,0,1] row_mask:0xf bank_mask:0xf// 0000000040E0: 160A0AFA FF004E05
	v_max_f32_dpp v6, v6, v6 quad_perm:[2,3,0,1] row_mask:0xf bank_mask:0xf// 0000000040E8: 160C0CFA FF004E06
	v_max_f32_dpp v4, v4, v4 row_shr:4 row_mask:0xf bank_mask:0xf// 0000000040F0: 160808FA FF011404
	v_max_f32_dpp v5, v5, v5 row_shr:4 row_mask:0xf bank_mask:0xf// 0000000040F8: 160A0AFA FF011405
	v_max_f32_dpp v6, v6, v6 row_shr:4 row_mask:0xf bank_mask:0xf// 000000004100: 160C0CFA FF011406
	v_max_f32_dpp v4, v4, v4 row_shr:8 row_mask:0xf bank_mask:0xf// 000000004108: 160808FA FF011804
	v_max_f32_dpp v5, v5, v5 row_shr:8 row_mask:0xf bank_mask:0xf// 000000004110: 160A0AFA FF011805
	v_max_f32_dpp v6, v6, v6 row_shr:8 row_mask:0xf bank_mask:0xf// 000000004118: 160C0CFA FF011806
	v_max_f32_dpp v4, v4, v4 row_bcast:15 row_mask:0xf bank_mask:0xf// 000000004120: 160808FA FF014204
	v_max_f32_dpp v5, v5, v5 row_bcast:15 row_mask:0xf bank_mask:0xf// 000000004128: 160A0AFA FF014205
	v_max_f32_dpp v6, v6, v6 row_bcast:15 row_mask:0xf bank_mask:0xf// 000000004130: 160C0CFA FF014206
	v_max_f32_dpp v4, v4, v4 row_bcast:31 row_mask:0xf bank_mask:0xf// 000000004138: 160808FA FF014304
	v_max_f32_dpp v5, v5, v5 row_bcast:31 row_mask:0xf bank_mask:0xf// 000000004140: 160A0AFA FF014305
	v_max_f32_dpp v6, v6, v6 row_bcast:31 row_mask:0xf bank_mask:0xf// 000000004148: 160C0CFA FF014306
	v_readlane_b32 s20, v4, 63                                 // 000000004150: D2890014 00017F04
	v_mov_b32_e32 v41, s20                                     // 000000004158: 7E520214
	v_readlane_b32 s21, v5, 63                                 // 00000000415C: D2890015 00017F05
	v_mov_b32_e32 v42, s21                                     // 000000004164: 7E540215
	v_readlane_b32 s22, v6, 63                                 // 000000004168: D2890016 00017F06
	v_mov_b32_e32 v43, s22                                     // 000000004170: 7E560216
	v_add_f32_e32 v47, v47, v41                                // 000000004174: 025E532F
	v_add_f32_e32 v48, v48, v42                                // 000000004178: 02605530
	v_add_f32_e32 v49, v49, v43                                // 00000000417C: 02625731
	v_cmp_eq_f32_e64 s[24:25], v41, v17                        // 000000004180: D0420018 00022329
	v_cmp_eq_f32_e64 s[26:27], v41, v18                        // 000000004188: D042001A 00022529
	v_cmp_eq_f32_e64 s[28:29], v41, v19                        // 000000004190: D042001C 00022729
	v_cmp_eq_f32_e64 s[30:31], v41, v20                        // 000000004198: D042001E 00022929
	s_ff1_i32_b64 s48, s[24:25]                                // 0000000041A0: BEB01118
	s_ff1_i32_b64 s49, s[26:27]                                // 0000000041A4: BEB1111A
	s_ff1_i32_b64 s50, s[28:29]                                // 0000000041A8: BEB2111C
	s_ff1_i32_b64 s51, s[30:31]                                // 0000000041AC: BEB3111E
	v_cmp_eq_f32_e64 s[32:33], v42, v21                        // 0000000041B0: D0420020 00022B2A
	v_cmp_eq_f32_e64 s[34:35], v42, v22                        // 0000000041B8: D0420022 00022D2A
	v_cmp_eq_f32_e64 s[36:37], v42, v23                        // 0000000041C0: D0420024 00022F2A
	v_cmp_eq_f32_e64 s[38:39], v42, v24                        // 0000000041C8: D0420026 0002312A
	s_ff1_i32_b64 s52, s[32:33]                                // 0000000041D0: BEB41120
	s_ff1_i32_b64 s53, s[34:35]                                // 0000000041D4: BEB51122
	s_ff1_i32_b64 s54, s[36:37]                                // 0000000041D8: BEB61124
	s_ff1_i32_b64 s55, s[38:39]                                // 0000000041DC: BEB71126
	v_cmp_eq_f32_e64 s[40:41], v43, v25                        // 0000000041E0: D0420028 0002332B
	v_cmp_eq_f32_e64 s[42:43], v43, v26                        // 0000000041E8: D042002A 0002352B
	v_cmp_eq_f32_e64 s[44:45], v43, v27                        // 0000000041F0: D042002C 0002372B
	v_cmp_eq_f32_e64 s[46:47], v43, v28                        // 0000000041F8: D042002E 0002392B
	s_ff1_i32_b64 s56, s[40:41]                                // 000000004200: BEB81128
	s_ff1_i32_b64 s57, s[42:43]                                // 000000004204: BEB9112A
	s_ff1_i32_b64 s58, s[44:45]                                // 000000004208: BEBA112C
	s_ff1_i32_b64 s59, s[46:47]                                // 00000000420C: BEBB112E
	v_readlane_b32 s20, v41, 0                                 // 000000004210: D2890014 00010129
	v_writelane_b32 v32, s20, 3                                // 000000004218: D28A0020 00010614
	v_readlane_b32 s21, v42, 0                                 // 000000004220: D2890015 0001012A
	v_writelane_b32 v33, s21, 3                                // 000000004228: D28A0021 00010615
	v_readlane_b32 s22, v43, 0                                 // 000000004230: D2890016 0001012B
	v_writelane_b32 v34, s22, 3                                // 000000004238: D28A0022 00010616
	s_mov_b32 s22, s48                                         // 000000004240: BE960030
	s_cmp_eq_u32 s48, -1                                       // 000000004244: BF06C130
	s_cselect_b32 s21, 1, 0                                    // 000000004248: 85158081
	s_cbranch_scc0 label_09A4                                  // 00000000424C: BF840010
	s_add_u32 s75, s21, s75                                    // 000000004250: 804B4B15
	s_mov_b32 s22, s49                                         // 000000004254: BE960031
	s_cmp_eq_u32 s49, -1                                       // 000000004258: BF06C131
	s_cselect_b32 s21, 1, 0                                    // 00000000425C: 85158081
	s_cbranch_scc0 label_09A4                                  // 000000004260: BF84000B
	s_add_u32 s75, s21, s75                                    // 000000004264: 804B4B15
	s_mov_b32 s22, s50                                         // 000000004268: BE960032
	s_cmp_eq_u32 s50, -1                                       // 00000000426C: BF06C132
	s_cselect_b32 s21, 1, 0                                    // 000000004270: 85158081
	s_cbranch_scc0 label_09A4                                  // 000000004274: BF840006
	s_add_u32 s75, s21, s75                                    // 000000004278: 804B4B15
	s_mov_b32 s22, s51                                         // 00000000427C: BE960033
	s_cmp_eq_u32 s51, -1                                       // 000000004280: BF06C133
	s_cselect_b32 s21, 1, 0                                    // 000000004284: 85158081
	s_cbranch_scc0 label_09A4                                  // 000000004288: BF840001
	s_add_u32 s75, s21, s75                                    // 00000000428C: 804B4B15

0000000000004290 <label_09A4>:
	s_set_gpr_idx_on s75, gpr_idx(DST)                         // 000000004290: BF11084B
	v_writelane_b32 v17, 0, s22                                // 000000004294: D28A0011 00002C80
	s_set_gpr_idx_off                                          // 00000000429C: BF9C0000
	s_mul_i32 s75, 64, s75                                     // 0000000042A0: 924B4BC0
	s_add_u32 s75, s22, s75                                    // 0000000042A4: 804B4B16
	v_writelane_b32 v29, s75, 3                                // 0000000042A8: D28A001D 0001064B
	s_mov_b32 s22, s52                                         // 0000000042B0: BE960034
	s_cmp_eq_u32 s52, -1                                       // 0000000042B4: BF06C134
	s_cselect_b32 s21, 1, 0                                    // 0000000042B8: 85158081
	s_cbranch_scc0 label_09C0                                  // 0000000042BC: BF840010
	s_add_u32 s83, s21, s83                                    // 0000000042C0: 80535315
	s_mov_b32 s22, s53                                         // 0000000042C4: BE960035
	s_cmp_eq_u32 s53, -1                                       // 0000000042C8: BF06C135
	s_cselect_b32 s21, 1, 0                                    // 0000000042CC: 85158081
	s_cbranch_scc0 label_09C0                                  // 0000000042D0: BF84000B
	s_add_u32 s83, s21, s83                                    // 0000000042D4: 80535315
	s_mov_b32 s22, s54                                         // 0000000042D8: BE960036
	s_cmp_eq_u32 s54, -1                                       // 0000000042DC: BF06C136
	s_cselect_b32 s21, 1, 0                                    // 0000000042E0: 85158081
	s_cbranch_scc0 label_09C0                                  // 0000000042E4: BF840006
	s_add_u32 s83, s21, s83                                    // 0000000042E8: 80535315
	s_mov_b32 s22, s55                                         // 0000000042EC: BE960037
	s_cmp_eq_u32 s55, -1                                       // 0000000042F0: BF06C137
	s_cselect_b32 s21, 1, 0                                    // 0000000042F4: 85158081
	s_cbranch_scc0 label_09C0                                  // 0000000042F8: BF840001
	s_add_u32 s83, s21, s83                                    // 0000000042FC: 80535315

0000000000004300 <label_09C0>:
	s_set_gpr_idx_on s83, gpr_idx(DST)                         // 000000004300: BF110853
	v_writelane_b32 v21, 0, s22                                // 000000004304: D28A0015 00002C80
	s_set_gpr_idx_off                                          // 00000000430C: BF9C0000
	s_mul_i32 s83, 64, s83                                     // 000000004310: 925353C0
	s_add_u32 s83, s22, s83                                    // 000000004314: 80535316
	v_writelane_b32 v30, s83, 3                                // 000000004318: D28A001E 00010653
	s_mov_b32 s22, s56                                         // 000000004320: BE960038
	s_cmp_eq_u32 s56, -1                                       // 000000004324: BF06C138
	s_cselect_b32 s21, 1, 0                                    // 000000004328: 85158081
	s_cbranch_scc0 label_09DC                                  // 00000000432C: BF840010
	s_add_u32 s91, s21, s91                                    // 000000004330: 805B5B15
	s_mov_b32 s22, s57                                         // 000000004334: BE960039
	s_cmp_eq_u32 s57, -1                                       // 000000004338: BF06C139
	s_cselect_b32 s21, 1, 0                                    // 00000000433C: 85158081
	s_cbranch_scc0 label_09DC                                  // 000000004340: BF84000B
	s_add_u32 s91, s21, s91                                    // 000000004344: 805B5B15
	s_mov_b32 s22, s58                                         // 000000004348: BE96003A
	s_cmp_eq_u32 s58, -1                                       // 00000000434C: BF06C13A
	s_cselect_b32 s21, 1, 0                                    // 000000004350: 85158081
	s_cbranch_scc0 label_09DC                                  // 000000004354: BF840006
	s_add_u32 s91, s21, s91                                    // 000000004358: 805B5B15
	s_mov_b32 s22, s59                                         // 00000000435C: BE96003B
	s_cmp_eq_u32 s59, -1                                       // 000000004360: BF06C13B
	s_cselect_b32 s21, 1, 0                                    // 000000004364: 85158081
	s_cbranch_scc0 label_09DC                                  // 000000004368: BF840001
	s_add_u32 s91, s21, s91                                    // 00000000436C: 805B5B15

0000000000004370 <label_09DC>:
	s_set_gpr_idx_on s91, gpr_idx(DST)                         // 000000004370: BF11085B
	v_writelane_b32 v25, 0, s22                                // 000000004374: D28A0019 00002C80
	s_set_gpr_idx_off                                          // 00000000437C: BF9C0000
	s_mul_i32 s91, 64, s91                                     // 000000004380: 925B5BC0
	s_add_u32 s91, s22, s91                                    // 000000004384: 805B5B16
	v_writelane_b32 v31, s91, 3                                // 000000004388: D28A001F 0001065B
	v_max_f32_e32 v41, v17, v18                                // 000000004390: 16522511
	v_max3_f32 v41, v41, v19, v20                              // 000000004394: D1D30029 04522729
	v_max_f32_e32 v42, v21, v22                                // 00000000439C: 16542D15
	v_max3_f32 v42, v42, v23, v24                              // 0000000043A0: D1D3002A 04622F2A
	v_max_f32_e32 v43, v25, v26                                // 0000000043A8: 16563519
	v_max3_f32 v43, v43, v27, v28                              // 0000000043AC: D1D3002B 0472372B
	v_max_f32_dpp v4, v41, v41 quad_perm:[1,0,3,2] row_mask:0xf bank_mask:0xf// 0000000043B4: 160852FA FF00B129
	v_max_f32_dpp v5, v42, v42 quad_perm:[1,0,3,2] row_mask:0xf bank_mask:0xf// 0000000043BC: 160A54FA FF00B12A
	v_max_f32_dpp v6, v43, v43 quad_perm:[1,0,3,2] row_mask:0xf bank_mask:0xf// 0000000043C4: 160C56FA FF00B12B
	v_max_f32_dpp v4, v4, v4 quad_perm:[2,3,0,1] row_mask:0xf bank_mask:0xf// 0000000043CC: 160808FA FF004E04
	v_max_f32_dpp v5, v5, v5 quad_perm:[2,3,0,1] row_mask:0xf bank_mask:0xf// 0000000043D4: 160A0AFA FF004E05
	v_max_f32_dpp v6, v6, v6 quad_perm:[2,3,0,1] row_mask:0xf bank_mask:0xf// 0000000043DC: 160C0CFA FF004E06
	v_max_f32_dpp v4, v4, v4 row_shr:4 row_mask:0xf bank_mask:0xf// 0000000043E4: 160808FA FF011404
	v_max_f32_dpp v5, v5, v5 row_shr:4 row_mask:0xf bank_mask:0xf// 0000000043EC: 160A0AFA FF011405
	v_max_f32_dpp v6, v6, v6 row_shr:4 row_mask:0xf bank_mask:0xf// 0000000043F4: 160C0CFA FF011406
	v_max_f32_dpp v4, v4, v4 row_shr:8 row_mask:0xf bank_mask:0xf// 0000000043FC: 160808FA FF011804
	v_max_f32_dpp v5, v5, v5 row_shr:8 row_mask:0xf bank_mask:0xf// 000000004404: 160A0AFA FF011805
	v_max_f32_dpp v6, v6, v6 row_shr:8 row_mask:0xf bank_mask:0xf// 00000000440C: 160C0CFA FF011806
	v_max_f32_dpp v4, v4, v4 row_bcast:15 row_mask:0xf bank_mask:0xf// 000000004414: 160808FA FF014204
	v_max_f32_dpp v5, v5, v5 row_bcast:15 row_mask:0xf bank_mask:0xf// 00000000441C: 160A0AFA FF014205
	v_max_f32_dpp v6, v6, v6 row_bcast:15 row_mask:0xf bank_mask:0xf// 000000004424: 160C0CFA FF014206
	v_max_f32_dpp v4, v4, v4 row_bcast:31 row_mask:0xf bank_mask:0xf// 00000000442C: 160808FA FF014304
	v_max_f32_dpp v5, v5, v5 row_bcast:31 row_mask:0xf bank_mask:0xf// 000000004434: 160A0AFA FF014305
	v_max_f32_dpp v6, v6, v6 row_bcast:31 row_mask:0xf bank_mask:0xf// 00000000443C: 160C0CFA FF014306
	v_readlane_b32 s20, v4, 63                                 // 000000004444: D2890014 00017F04
	v_mov_b32_e32 v41, s20                                     // 00000000444C: 7E520214
	v_readlane_b32 s21, v5, 63                                 // 000000004450: D2890015 00017F05
	v_mov_b32_e32 v42, s21                                     // 000000004458: 7E540215
	v_readlane_b32 s22, v6, 63                                 // 00000000445C: D2890016 00017F06
	v_mov_b32_e32 v43, s22                                     // 000000004464: 7E560216
	v_add_f32_e32 v47, v47, v41                                // 000000004468: 025E532F
	v_add_f32_e32 v48, v48, v42                                // 00000000446C: 02605530
	v_add_f32_e32 v49, v49, v43                                // 000000004470: 02625731
	v_cmp_eq_f32_e64 s[24:25], v41, v17                        // 000000004474: D0420018 00022329
	v_cmp_eq_f32_e64 s[26:27], v41, v18                        // 00000000447C: D042001A 00022529
	v_cmp_eq_f32_e64 s[28:29], v41, v19                        // 000000004484: D042001C 00022729
	v_cmp_eq_f32_e64 s[30:31], v41, v20                        // 00000000448C: D042001E 00022929
	s_ff1_i32_b64 s48, s[24:25]                                // 000000004494: BEB01118
	s_ff1_i32_b64 s49, s[26:27]                                // 000000004498: BEB1111A
	s_ff1_i32_b64 s50, s[28:29]                                // 00000000449C: BEB2111C
	s_ff1_i32_b64 s51, s[30:31]                                // 0000000044A0: BEB3111E
	v_cmp_eq_f32_e64 s[32:33], v42, v21                        // 0000000044A4: D0420020 00022B2A
	v_cmp_eq_f32_e64 s[34:35], v42, v22                        // 0000000044AC: D0420022 00022D2A
	v_cmp_eq_f32_e64 s[36:37], v42, v23                        // 0000000044B4: D0420024 00022F2A
	v_cmp_eq_f32_e64 s[38:39], v42, v24                        // 0000000044BC: D0420026 0002312A
	s_ff1_i32_b64 s52, s[32:33]                                // 0000000044C4: BEB41120
	s_ff1_i32_b64 s53, s[34:35]                                // 0000000044C8: BEB51122
	s_ff1_i32_b64 s54, s[36:37]                                // 0000000044CC: BEB61124
	s_ff1_i32_b64 s55, s[38:39]                                // 0000000044D0: BEB71126
	v_cmp_eq_f32_e64 s[40:41], v43, v25                        // 0000000044D4: D0420028 0002332B
	v_cmp_eq_f32_e64 s[42:43], v43, v26                        // 0000000044DC: D042002A 0002352B
	v_cmp_eq_f32_e64 s[44:45], v43, v27                        // 0000000044E4: D042002C 0002372B
	v_cmp_eq_f32_e64 s[46:47], v43, v28                        // 0000000044EC: D042002E 0002392B
	s_ff1_i32_b64 s56, s[40:41]                                // 0000000044F4: BEB81128
	s_ff1_i32_b64 s57, s[42:43]                                // 0000000044F8: BEB9112A
	s_ff1_i32_b64 s58, s[44:45]                                // 0000000044FC: BEBA112C
	s_ff1_i32_b64 s59, s[46:47]                                // 000000004500: BEBB112E
	v_readlane_b32 s20, v41, 0                                 // 000000004504: D2890014 00010129
	v_writelane_b32 v32, s20, 4                                // 00000000450C: D28A0020 00010814
	v_readlane_b32 s21, v42, 0                                 // 000000004514: D2890015 0001012A
	v_writelane_b32 v33, s21, 4                                // 00000000451C: D28A0021 00010815
	v_readlane_b32 s22, v43, 0                                 // 000000004524: D2890016 0001012B
	v_writelane_b32 v34, s22, 4                                // 00000000452C: D28A0022 00010816
	s_mov_b32 s22, s48                                         // 000000004534: BE960030
	s_cmp_eq_u32 s48, -1                                       // 000000004538: BF06C130
	s_cselect_b32 s21, 1, 0                                    // 00000000453C: 85158081
	s_cbranch_scc0 label_0A61                                  // 000000004540: BF840010
	s_add_u32 s76, s21, s76                                    // 000000004544: 804C4C15
	s_mov_b32 s22, s49                                         // 000000004548: BE960031
	s_cmp_eq_u32 s49, -1                                       // 00000000454C: BF06C131
	s_cselect_b32 s21, 1, 0                                    // 000000004550: 85158081
	s_cbranch_scc0 label_0A61                                  // 000000004554: BF84000B
	s_add_u32 s76, s21, s76                                    // 000000004558: 804C4C15
	s_mov_b32 s22, s50                                         // 00000000455C: BE960032
	s_cmp_eq_u32 s50, -1                                       // 000000004560: BF06C132
	s_cselect_b32 s21, 1, 0                                    // 000000004564: 85158081
	s_cbranch_scc0 label_0A61                                  // 000000004568: BF840006
	s_add_u32 s76, s21, s76                                    // 00000000456C: 804C4C15
	s_mov_b32 s22, s51                                         // 000000004570: BE960033
	s_cmp_eq_u32 s51, -1                                       // 000000004574: BF06C133
	s_cselect_b32 s21, 1, 0                                    // 000000004578: 85158081
	s_cbranch_scc0 label_0A61                                  // 00000000457C: BF840001
	s_add_u32 s76, s21, s76                                    // 000000004580: 804C4C15

0000000000004584 <label_0A61>:
	s_set_gpr_idx_on s76, gpr_idx(DST)                         // 000000004584: BF11084C
	v_writelane_b32 v17, 0, s22                                // 000000004588: D28A0011 00002C80
	s_set_gpr_idx_off                                          // 000000004590: BF9C0000
	s_mul_i32 s76, 64, s76                                     // 000000004594: 924C4CC0
	s_add_u32 s76, s22, s76                                    // 000000004598: 804C4C16
	v_writelane_b32 v29, s76, 4                                // 00000000459C: D28A001D 0001084C
	s_mov_b32 s22, s52                                         // 0000000045A4: BE960034
	s_cmp_eq_u32 s52, -1                                       // 0000000045A8: BF06C134
	s_cselect_b32 s21, 1, 0                                    // 0000000045AC: 85158081
	s_cbranch_scc0 label_0A7D                                  // 0000000045B0: BF840010
	s_add_u32 s84, s21, s84                                    // 0000000045B4: 80545415
	s_mov_b32 s22, s53                                         // 0000000045B8: BE960035
	s_cmp_eq_u32 s53, -1                                       // 0000000045BC: BF06C135
	s_cselect_b32 s21, 1, 0                                    // 0000000045C0: 85158081
	s_cbranch_scc0 label_0A7D                                  // 0000000045C4: BF84000B
	s_add_u32 s84, s21, s84                                    // 0000000045C8: 80545415
	s_mov_b32 s22, s54                                         // 0000000045CC: BE960036
	s_cmp_eq_u32 s54, -1                                       // 0000000045D0: BF06C136
	s_cselect_b32 s21, 1, 0                                    // 0000000045D4: 85158081
	s_cbranch_scc0 label_0A7D                                  // 0000000045D8: BF840006
	s_add_u32 s84, s21, s84                                    // 0000000045DC: 80545415
	s_mov_b32 s22, s55                                         // 0000000045E0: BE960037
	s_cmp_eq_u32 s55, -1                                       // 0000000045E4: BF06C137
	s_cselect_b32 s21, 1, 0                                    // 0000000045E8: 85158081
	s_cbranch_scc0 label_0A7D                                  // 0000000045EC: BF840001
	s_add_u32 s84, s21, s84                                    // 0000000045F0: 80545415

00000000000045f4 <label_0A7D>:
	s_set_gpr_idx_on s84, gpr_idx(DST)                         // 0000000045F4: BF110854
	v_writelane_b32 v21, 0, s22                                // 0000000045F8: D28A0015 00002C80
	s_set_gpr_idx_off                                          // 000000004600: BF9C0000
	s_mul_i32 s84, 64, s84                                     // 000000004604: 925454C0
	s_add_u32 s84, s22, s84                                    // 000000004608: 80545416
	v_writelane_b32 v30, s84, 4                                // 00000000460C: D28A001E 00010854
	s_mov_b32 s22, s56                                         // 000000004614: BE960038
	s_cmp_eq_u32 s56, -1                                       // 000000004618: BF06C138
	s_cselect_b32 s21, 1, 0                                    // 00000000461C: 85158081
	s_cbranch_scc0 label_0A99                                  // 000000004620: BF840010
	s_add_u32 s92, s21, s92                                    // 000000004624: 805C5C15
	s_mov_b32 s22, s57                                         // 000000004628: BE960039
	s_cmp_eq_u32 s57, -1                                       // 00000000462C: BF06C139
	s_cselect_b32 s21, 1, 0                                    // 000000004630: 85158081
	s_cbranch_scc0 label_0A99                                  // 000000004634: BF84000B
	s_add_u32 s92, s21, s92                                    // 000000004638: 805C5C15
	s_mov_b32 s22, s58                                         // 00000000463C: BE96003A
	s_cmp_eq_u32 s58, -1                                       // 000000004640: BF06C13A
	s_cselect_b32 s21, 1, 0                                    // 000000004644: 85158081
	s_cbranch_scc0 label_0A99                                  // 000000004648: BF840006
	s_add_u32 s92, s21, s92                                    // 00000000464C: 805C5C15
	s_mov_b32 s22, s59                                         // 000000004650: BE96003B
	s_cmp_eq_u32 s59, -1                                       // 000000004654: BF06C13B
	s_cselect_b32 s21, 1, 0                                    // 000000004658: 85158081
	s_cbranch_scc0 label_0A99                                  // 00000000465C: BF840001
	s_add_u32 s92, s21, s92                                    // 000000004660: 805C5C15

0000000000004664 <label_0A99>:
	s_set_gpr_idx_on s92, gpr_idx(DST)                         // 000000004664: BF11085C
	v_writelane_b32 v25, 0, s22                                // 000000004668: D28A0019 00002C80
	s_set_gpr_idx_off                                          // 000000004670: BF9C0000
	s_mul_i32 s92, 64, s92                                     // 000000004674: 925C5CC0
	s_add_u32 s92, s22, s92                                    // 000000004678: 805C5C16
	v_writelane_b32 v31, s92, 4                                // 00000000467C: D28A001F 0001085C
	v_max_f32_e32 v41, v17, v18                                // 000000004684: 16522511
	v_max3_f32 v41, v41, v19, v20                              // 000000004688: D1D30029 04522729
	v_max_f32_e32 v42, v21, v22                                // 000000004690: 16542D15
	v_max3_f32 v42, v42, v23, v24                              // 000000004694: D1D3002A 04622F2A
	v_max_f32_e32 v43, v25, v26                                // 00000000469C: 16563519
	v_max3_f32 v43, v43, v27, v28                              // 0000000046A0: D1D3002B 0472372B
	v_max_f32_dpp v4, v41, v41 quad_perm:[1,0,3,2] row_mask:0xf bank_mask:0xf// 0000000046A8: 160852FA FF00B129
	v_max_f32_dpp v5, v42, v42 quad_perm:[1,0,3,2] row_mask:0xf bank_mask:0xf// 0000000046B0: 160A54FA FF00B12A
	v_max_f32_dpp v6, v43, v43 quad_perm:[1,0,3,2] row_mask:0xf bank_mask:0xf// 0000000046B8: 160C56FA FF00B12B
	v_max_f32_dpp v4, v4, v4 quad_perm:[2,3,0,1] row_mask:0xf bank_mask:0xf// 0000000046C0: 160808FA FF004E04
	v_max_f32_dpp v5, v5, v5 quad_perm:[2,3,0,1] row_mask:0xf bank_mask:0xf// 0000000046C8: 160A0AFA FF004E05
	v_max_f32_dpp v6, v6, v6 quad_perm:[2,3,0,1] row_mask:0xf bank_mask:0xf// 0000000046D0: 160C0CFA FF004E06
	v_max_f32_dpp v4, v4, v4 row_shr:4 row_mask:0xf bank_mask:0xf// 0000000046D8: 160808FA FF011404
	v_max_f32_dpp v5, v5, v5 row_shr:4 row_mask:0xf bank_mask:0xf// 0000000046E0: 160A0AFA FF011405
	v_max_f32_dpp v6, v6, v6 row_shr:4 row_mask:0xf bank_mask:0xf// 0000000046E8: 160C0CFA FF011406
	v_max_f32_dpp v4, v4, v4 row_shr:8 row_mask:0xf bank_mask:0xf// 0000000046F0: 160808FA FF011804
	v_max_f32_dpp v5, v5, v5 row_shr:8 row_mask:0xf bank_mask:0xf// 0000000046F8: 160A0AFA FF011805
	v_max_f32_dpp v6, v6, v6 row_shr:8 row_mask:0xf bank_mask:0xf// 000000004700: 160C0CFA FF011806
	v_max_f32_dpp v4, v4, v4 row_bcast:15 row_mask:0xf bank_mask:0xf// 000000004708: 160808FA FF014204
	v_max_f32_dpp v5, v5, v5 row_bcast:15 row_mask:0xf bank_mask:0xf// 000000004710: 160A0AFA FF014205
	v_max_f32_dpp v6, v6, v6 row_bcast:15 row_mask:0xf bank_mask:0xf// 000000004718: 160C0CFA FF014206
	v_max_f32_dpp v4, v4, v4 row_bcast:31 row_mask:0xf bank_mask:0xf// 000000004720: 160808FA FF014304
	v_max_f32_dpp v5, v5, v5 row_bcast:31 row_mask:0xf bank_mask:0xf// 000000004728: 160A0AFA FF014305
	v_max_f32_dpp v6, v6, v6 row_bcast:31 row_mask:0xf bank_mask:0xf// 000000004730: 160C0CFA FF014306
	v_readlane_b32 s20, v4, 63                                 // 000000004738: D2890014 00017F04
	v_mov_b32_e32 v41, s20                                     // 000000004740: 7E520214
	v_readlane_b32 s21, v5, 63                                 // 000000004744: D2890015 00017F05
	v_mov_b32_e32 v42, s21                                     // 00000000474C: 7E540215
	v_readlane_b32 s22, v6, 63                                 // 000000004750: D2890016 00017F06
	v_mov_b32_e32 v43, s22                                     // 000000004758: 7E560216
	v_add_f32_e32 v47, v47, v41                                // 00000000475C: 025E532F
	v_add_f32_e32 v48, v48, v42                                // 000000004760: 02605530
	v_add_f32_e32 v49, v49, v43                                // 000000004764: 02625731
	v_cmp_eq_f32_e64 s[24:25], v41, v17                        // 000000004768: D0420018 00022329
	v_cmp_eq_f32_e64 s[26:27], v41, v18                        // 000000004770: D042001A 00022529
	v_cmp_eq_f32_e64 s[28:29], v41, v19                        // 000000004778: D042001C 00022729
	v_cmp_eq_f32_e64 s[30:31], v41, v20                        // 000000004780: D042001E 00022929
	s_ff1_i32_b64 s48, s[24:25]                                // 000000004788: BEB01118
	s_ff1_i32_b64 s49, s[26:27]                                // 00000000478C: BEB1111A
	s_ff1_i32_b64 s50, s[28:29]                                // 000000004790: BEB2111C
	s_ff1_i32_b64 s51, s[30:31]                                // 000000004794: BEB3111E
	v_cmp_eq_f32_e64 s[32:33], v42, v21                        // 000000004798: D0420020 00022B2A
	v_cmp_eq_f32_e64 s[34:35], v42, v22                        // 0000000047A0: D0420022 00022D2A
	v_cmp_eq_f32_e64 s[36:37], v42, v23                        // 0000000047A8: D0420024 00022F2A
	v_cmp_eq_f32_e64 s[38:39], v42, v24                        // 0000000047B0: D0420026 0002312A
	s_ff1_i32_b64 s52, s[32:33]                                // 0000000047B8: BEB41120
	s_ff1_i32_b64 s53, s[34:35]                                // 0000000047BC: BEB51122
	s_ff1_i32_b64 s54, s[36:37]                                // 0000000047C0: BEB61124
	s_ff1_i32_b64 s55, s[38:39]                                // 0000000047C4: BEB71126
	v_cmp_eq_f32_e64 s[40:41], v43, v25                        // 0000000047C8: D0420028 0002332B
	v_cmp_eq_f32_e64 s[42:43], v43, v26                        // 0000000047D0: D042002A 0002352B
	v_cmp_eq_f32_e64 s[44:45], v43, v27                        // 0000000047D8: D042002C 0002372B
	v_cmp_eq_f32_e64 s[46:47], v43, v28                        // 0000000047E0: D042002E 0002392B
	s_ff1_i32_b64 s56, s[40:41]                                // 0000000047E8: BEB81128
	s_ff1_i32_b64 s57, s[42:43]                                // 0000000047EC: BEB9112A
	s_ff1_i32_b64 s58, s[44:45]                                // 0000000047F0: BEBA112C
	s_ff1_i32_b64 s59, s[46:47]                                // 0000000047F4: BEBB112E
	v_readlane_b32 s20, v41, 0                                 // 0000000047F8: D2890014 00010129
	v_writelane_b32 v32, s20, 5                                // 000000004800: D28A0020 00010A14
	v_readlane_b32 s21, v42, 0                                 // 000000004808: D2890015 0001012A
	v_writelane_b32 v33, s21, 5                                // 000000004810: D28A0021 00010A15
	v_readlane_b32 s22, v43, 0                                 // 000000004818: D2890016 0001012B
	v_writelane_b32 v34, s22, 5                                // 000000004820: D28A0022 00010A16
	s_mov_b32 s22, s48                                         // 000000004828: BE960030
	s_cmp_eq_u32 s48, -1                                       // 00000000482C: BF06C130
	s_cselect_b32 s21, 1, 0                                    // 000000004830: 85158081
	s_cbranch_scc0 label_0B1E                                  // 000000004834: BF840010
	s_add_u32 s77, s21, s77                                    // 000000004838: 804D4D15
	s_mov_b32 s22, s49                                         // 00000000483C: BE960031
	s_cmp_eq_u32 s49, -1                                       // 000000004840: BF06C131
	s_cselect_b32 s21, 1, 0                                    // 000000004844: 85158081
	s_cbranch_scc0 label_0B1E                                  // 000000004848: BF84000B
	s_add_u32 s77, s21, s77                                    // 00000000484C: 804D4D15
	s_mov_b32 s22, s50                                         // 000000004850: BE960032
	s_cmp_eq_u32 s50, -1                                       // 000000004854: BF06C132
	s_cselect_b32 s21, 1, 0                                    // 000000004858: 85158081
	s_cbranch_scc0 label_0B1E                                  // 00000000485C: BF840006
	s_add_u32 s77, s21, s77                                    // 000000004860: 804D4D15
	s_mov_b32 s22, s51                                         // 000000004864: BE960033
	s_cmp_eq_u32 s51, -1                                       // 000000004868: BF06C133
	s_cselect_b32 s21, 1, 0                                    // 00000000486C: 85158081
	s_cbranch_scc0 label_0B1E                                  // 000000004870: BF840001
	s_add_u32 s77, s21, s77                                    // 000000004874: 804D4D15

0000000000004878 <label_0B1E>:
	s_set_gpr_idx_on s77, gpr_idx(DST)                         // 000000004878: BF11084D
	v_writelane_b32 v17, 0, s22                                // 00000000487C: D28A0011 00002C80
	s_set_gpr_idx_off                                          // 000000004884: BF9C0000
	s_mul_i32 s77, 64, s77                                     // 000000004888: 924D4DC0
	s_add_u32 s77, s22, s77                                    // 00000000488C: 804D4D16
	v_writelane_b32 v29, s77, 5                                // 000000004890: D28A001D 00010A4D
	s_mov_b32 s22, s52                                         // 000000004898: BE960034
	s_cmp_eq_u32 s52, -1                                       // 00000000489C: BF06C134
	s_cselect_b32 s21, 1, 0                                    // 0000000048A0: 85158081
	s_cbranch_scc0 label_0B3A                                  // 0000000048A4: BF840010
	s_add_u32 s85, s21, s85                                    // 0000000048A8: 80555515
	s_mov_b32 s22, s53                                         // 0000000048AC: BE960035
	s_cmp_eq_u32 s53, -1                                       // 0000000048B0: BF06C135
	s_cselect_b32 s21, 1, 0                                    // 0000000048B4: 85158081
	s_cbranch_scc0 label_0B3A                                  // 0000000048B8: BF84000B
	s_add_u32 s85, s21, s85                                    // 0000000048BC: 80555515
	s_mov_b32 s22, s54                                         // 0000000048C0: BE960036
	s_cmp_eq_u32 s54, -1                                       // 0000000048C4: BF06C136
	s_cselect_b32 s21, 1, 0                                    // 0000000048C8: 85158081
	s_cbranch_scc0 label_0B3A                                  // 0000000048CC: BF840006
	s_add_u32 s85, s21, s85                                    // 0000000048D0: 80555515
	s_mov_b32 s22, s55                                         // 0000000048D4: BE960037
	s_cmp_eq_u32 s55, -1                                       // 0000000048D8: BF06C137
	s_cselect_b32 s21, 1, 0                                    // 0000000048DC: 85158081
	s_cbranch_scc0 label_0B3A                                  // 0000000048E0: BF840001
	s_add_u32 s85, s21, s85                                    // 0000000048E4: 80555515

00000000000048e8 <label_0B3A>:
	s_set_gpr_idx_on s85, gpr_idx(DST)                         // 0000000048E8: BF110855
	v_writelane_b32 v21, 0, s22                                // 0000000048EC: D28A0015 00002C80
	s_set_gpr_idx_off                                          // 0000000048F4: BF9C0000
	s_mul_i32 s85, 64, s85                                     // 0000000048F8: 925555C0
	s_add_u32 s85, s22, s85                                    // 0000000048FC: 80555516
	v_writelane_b32 v30, s85, 5                                // 000000004900: D28A001E 00010A55
	s_mov_b32 s22, s56                                         // 000000004908: BE960038
	s_cmp_eq_u32 s56, -1                                       // 00000000490C: BF06C138
	s_cselect_b32 s21, 1, 0                                    // 000000004910: 85158081
	s_cbranch_scc0 label_0B56                                  // 000000004914: BF840010
	s_add_u32 s93, s21, s93                                    // 000000004918: 805D5D15
	s_mov_b32 s22, s57                                         // 00000000491C: BE960039
	s_cmp_eq_u32 s57, -1                                       // 000000004920: BF06C139
	s_cselect_b32 s21, 1, 0                                    // 000000004924: 85158081
	s_cbranch_scc0 label_0B56                                  // 000000004928: BF84000B
	s_add_u32 s93, s21, s93                                    // 00000000492C: 805D5D15
	s_mov_b32 s22, s58                                         // 000000004930: BE96003A
	s_cmp_eq_u32 s58, -1                                       // 000000004934: BF06C13A
	s_cselect_b32 s21, 1, 0                                    // 000000004938: 85158081
	s_cbranch_scc0 label_0B56                                  // 00000000493C: BF840006
	s_add_u32 s93, s21, s93                                    // 000000004940: 805D5D15
	s_mov_b32 s22, s59                                         // 000000004944: BE96003B
	s_cmp_eq_u32 s59, -1                                       // 000000004948: BF06C13B
	s_cselect_b32 s21, 1, 0                                    // 00000000494C: 85158081
	s_cbranch_scc0 label_0B56                                  // 000000004950: BF840001
	s_add_u32 s93, s21, s93                                    // 000000004954: 805D5D15

0000000000004958 <label_0B56>:
	s_set_gpr_idx_on s93, gpr_idx(DST)                         // 000000004958: BF11085D
	v_writelane_b32 v25, 0, s22                                // 00000000495C: D28A0019 00002C80
	s_set_gpr_idx_off                                          // 000000004964: BF9C0000
	s_mul_i32 s93, 64, s93                                     // 000000004968: 925D5DC0
	s_add_u32 s93, s22, s93                                    // 00000000496C: 805D5D16
	v_writelane_b32 v31, s93, 5                                // 000000004970: D28A001F 00010A5D
	v_max_f32_e32 v41, v17, v18                                // 000000004978: 16522511
	v_max3_f32 v41, v41, v19, v20                              // 00000000497C: D1D30029 04522729
	v_max_f32_e32 v42, v21, v22                                // 000000004984: 16542D15
	v_max3_f32 v42, v42, v23, v24                              // 000000004988: D1D3002A 04622F2A
	v_max_f32_e32 v43, v25, v26                                // 000000004990: 16563519
	v_max3_f32 v43, v43, v27, v28                              // 000000004994: D1D3002B 0472372B
	v_max_f32_dpp v4, v41, v41 quad_perm:[1,0,3,2] row_mask:0xf bank_mask:0xf// 00000000499C: 160852FA FF00B129
	v_max_f32_dpp v5, v42, v42 quad_perm:[1,0,3,2] row_mask:0xf bank_mask:0xf// 0000000049A4: 160A54FA FF00B12A
	v_max_f32_dpp v6, v43, v43 quad_perm:[1,0,3,2] row_mask:0xf bank_mask:0xf// 0000000049AC: 160C56FA FF00B12B
	v_max_f32_dpp v4, v4, v4 quad_perm:[2,3,0,1] row_mask:0xf bank_mask:0xf// 0000000049B4: 160808FA FF004E04
	v_max_f32_dpp v5, v5, v5 quad_perm:[2,3,0,1] row_mask:0xf bank_mask:0xf// 0000000049BC: 160A0AFA FF004E05
	v_max_f32_dpp v6, v6, v6 quad_perm:[2,3,0,1] row_mask:0xf bank_mask:0xf// 0000000049C4: 160C0CFA FF004E06
	v_max_f32_dpp v4, v4, v4 row_shr:4 row_mask:0xf bank_mask:0xf// 0000000049CC: 160808FA FF011404
	v_max_f32_dpp v5, v5, v5 row_shr:4 row_mask:0xf bank_mask:0xf// 0000000049D4: 160A0AFA FF011405
	v_max_f32_dpp v6, v6, v6 row_shr:4 row_mask:0xf bank_mask:0xf// 0000000049DC: 160C0CFA FF011406
	v_max_f32_dpp v4, v4, v4 row_shr:8 row_mask:0xf bank_mask:0xf// 0000000049E4: 160808FA FF011804
	v_max_f32_dpp v5, v5, v5 row_shr:8 row_mask:0xf bank_mask:0xf// 0000000049EC: 160A0AFA FF011805
	v_max_f32_dpp v6, v6, v6 row_shr:8 row_mask:0xf bank_mask:0xf// 0000000049F4: 160C0CFA FF011806
	v_max_f32_dpp v4, v4, v4 row_bcast:15 row_mask:0xf bank_mask:0xf// 0000000049FC: 160808FA FF014204
	v_max_f32_dpp v5, v5, v5 row_bcast:15 row_mask:0xf bank_mask:0xf// 000000004A04: 160A0AFA FF014205
	v_max_f32_dpp v6, v6, v6 row_bcast:15 row_mask:0xf bank_mask:0xf// 000000004A0C: 160C0CFA FF014206
	v_max_f32_dpp v4, v4, v4 row_bcast:31 row_mask:0xf bank_mask:0xf// 000000004A14: 160808FA FF014304
	v_max_f32_dpp v5, v5, v5 row_bcast:31 row_mask:0xf bank_mask:0xf// 000000004A1C: 160A0AFA FF014305
	v_max_f32_dpp v6, v6, v6 row_bcast:31 row_mask:0xf bank_mask:0xf// 000000004A24: 160C0CFA FF014306
	v_readlane_b32 s20, v4, 63                                 // 000000004A2C: D2890014 00017F04
	v_mov_b32_e32 v41, s20                                     // 000000004A34: 7E520214
	v_readlane_b32 s21, v5, 63                                 // 000000004A38: D2890015 00017F05
	v_mov_b32_e32 v42, s21                                     // 000000004A40: 7E540215
	v_readlane_b32 s22, v6, 63                                 // 000000004A44: D2890016 00017F06
	v_mov_b32_e32 v43, s22                                     // 000000004A4C: 7E560216
	v_add_f32_e32 v47, v47, v41                                // 000000004A50: 025E532F
	v_add_f32_e32 v48, v48, v42                                // 000000004A54: 02605530
	v_add_f32_e32 v49, v49, v43                                // 000000004A58: 02625731
	v_cmp_eq_f32_e64 s[24:25], v41, v17                        // 000000004A5C: D0420018 00022329
	v_cmp_eq_f32_e64 s[26:27], v41, v18                        // 000000004A64: D042001A 00022529
	v_cmp_eq_f32_e64 s[28:29], v41, v19                        // 000000004A6C: D042001C 00022729
	v_cmp_eq_f32_e64 s[30:31], v41, v20                        // 000000004A74: D042001E 00022929
	s_ff1_i32_b64 s48, s[24:25]                                // 000000004A7C: BEB01118
	s_ff1_i32_b64 s49, s[26:27]                                // 000000004A80: BEB1111A
	s_ff1_i32_b64 s50, s[28:29]                                // 000000004A84: BEB2111C
	s_ff1_i32_b64 s51, s[30:31]                                // 000000004A88: BEB3111E
	v_cmp_eq_f32_e64 s[32:33], v42, v21                        // 000000004A8C: D0420020 00022B2A
	v_cmp_eq_f32_e64 s[34:35], v42, v22                        // 000000004A94: D0420022 00022D2A
	v_cmp_eq_f32_e64 s[36:37], v42, v23                        // 000000004A9C: D0420024 00022F2A
	v_cmp_eq_f32_e64 s[38:39], v42, v24                        // 000000004AA4: D0420026 0002312A
	s_ff1_i32_b64 s52, s[32:33]                                // 000000004AAC: BEB41120
	s_ff1_i32_b64 s53, s[34:35]                                // 000000004AB0: BEB51122
	s_ff1_i32_b64 s54, s[36:37]                                // 000000004AB4: BEB61124
	s_ff1_i32_b64 s55, s[38:39]                                // 000000004AB8: BEB71126
	v_cmp_eq_f32_e64 s[40:41], v43, v25                        // 000000004ABC: D0420028 0002332B
	v_cmp_eq_f32_e64 s[42:43], v43, v26                        // 000000004AC4: D042002A 0002352B
	v_cmp_eq_f32_e64 s[44:45], v43, v27                        // 000000004ACC: D042002C 0002372B
	v_cmp_eq_f32_e64 s[46:47], v43, v28                        // 000000004AD4: D042002E 0002392B
	s_ff1_i32_b64 s56, s[40:41]                                // 000000004ADC: BEB81128
	s_ff1_i32_b64 s57, s[42:43]                                // 000000004AE0: BEB9112A
	s_ff1_i32_b64 s58, s[44:45]                                // 000000004AE4: BEBA112C
	s_ff1_i32_b64 s59, s[46:47]                                // 000000004AE8: BEBB112E
	v_readlane_b32 s20, v41, 0                                 // 000000004AEC: D2890014 00010129
	v_writelane_b32 v32, s20, 6                                // 000000004AF4: D28A0020 00010C14
	v_readlane_b32 s21, v42, 0                                 // 000000004AFC: D2890015 0001012A
	v_writelane_b32 v33, s21, 6                                // 000000004B04: D28A0021 00010C15
	v_readlane_b32 s22, v43, 0                                 // 000000004B0C: D2890016 0001012B
	v_writelane_b32 v34, s22, 6                                // 000000004B14: D28A0022 00010C16
	s_mov_b32 s22, s48                                         // 000000004B1C: BE960030
	s_cmp_eq_u32 s48, -1                                       // 000000004B20: BF06C130
	s_cselect_b32 s21, 1, 0                                    // 000000004B24: 85158081
	s_cbranch_scc0 label_0BDB                                  // 000000004B28: BF840010
	s_add_u32 s78, s21, s78                                    // 000000004B2C: 804E4E15
	s_mov_b32 s22, s49                                         // 000000004B30: BE960031
	s_cmp_eq_u32 s49, -1                                       // 000000004B34: BF06C131
	s_cselect_b32 s21, 1, 0                                    // 000000004B38: 85158081
	s_cbranch_scc0 label_0BDB                                  // 000000004B3C: BF84000B
	s_add_u32 s78, s21, s78                                    // 000000004B40: 804E4E15
	s_mov_b32 s22, s50                                         // 000000004B44: BE960032
	s_cmp_eq_u32 s50, -1                                       // 000000004B48: BF06C132
	s_cselect_b32 s21, 1, 0                                    // 000000004B4C: 85158081
	s_cbranch_scc0 label_0BDB                                  // 000000004B50: BF840006
	s_add_u32 s78, s21, s78                                    // 000000004B54: 804E4E15
	s_mov_b32 s22, s51                                         // 000000004B58: BE960033
	s_cmp_eq_u32 s51, -1                                       // 000000004B5C: BF06C133
	s_cselect_b32 s21, 1, 0                                    // 000000004B60: 85158081
	s_cbranch_scc0 label_0BDB                                  // 000000004B64: BF840001
	s_add_u32 s78, s21, s78                                    // 000000004B68: 804E4E15

0000000000004b6c <label_0BDB>:
	s_set_gpr_idx_on s78, gpr_idx(DST)                         // 000000004B6C: BF11084E
	v_writelane_b32 v17, 0, s22                                // 000000004B70: D28A0011 00002C80
	s_set_gpr_idx_off                                          // 000000004B78: BF9C0000
	s_mul_i32 s78, 64, s78                                     // 000000004B7C: 924E4EC0
	s_add_u32 s78, s22, s78                                    // 000000004B80: 804E4E16
	v_writelane_b32 v29, s78, 6                                // 000000004B84: D28A001D 00010C4E
	s_mov_b32 s22, s52                                         // 000000004B8C: BE960034
	s_cmp_eq_u32 s52, -1                                       // 000000004B90: BF06C134
	s_cselect_b32 s21, 1, 0                                    // 000000004B94: 85158081
	s_cbranch_scc0 label_0BF7                                  // 000000004B98: BF840010
	s_add_u32 s86, s21, s86                                    // 000000004B9C: 80565615
	s_mov_b32 s22, s53                                         // 000000004BA0: BE960035
	s_cmp_eq_u32 s53, -1                                       // 000000004BA4: BF06C135
	s_cselect_b32 s21, 1, 0                                    // 000000004BA8: 85158081
	s_cbranch_scc0 label_0BF7                                  // 000000004BAC: BF84000B
	s_add_u32 s86, s21, s86                                    // 000000004BB0: 80565615
	s_mov_b32 s22, s54                                         // 000000004BB4: BE960036
	s_cmp_eq_u32 s54, -1                                       // 000000004BB8: BF06C136
	s_cselect_b32 s21, 1, 0                                    // 000000004BBC: 85158081
	s_cbranch_scc0 label_0BF7                                  // 000000004BC0: BF840006
	s_add_u32 s86, s21, s86                                    // 000000004BC4: 80565615
	s_mov_b32 s22, s55                                         // 000000004BC8: BE960037
	s_cmp_eq_u32 s55, -1                                       // 000000004BCC: BF06C137
	s_cselect_b32 s21, 1, 0                                    // 000000004BD0: 85158081
	s_cbranch_scc0 label_0BF7                                  // 000000004BD4: BF840001
	s_add_u32 s86, s21, s86                                    // 000000004BD8: 80565615

0000000000004bdc <label_0BF7>:
	s_set_gpr_idx_on s86, gpr_idx(DST)                         // 000000004BDC: BF110856
	v_writelane_b32 v21, 0, s22                                // 000000004BE0: D28A0015 00002C80
	s_set_gpr_idx_off                                          // 000000004BE8: BF9C0000
	s_mul_i32 s86, 64, s86                                     // 000000004BEC: 925656C0
	s_add_u32 s86, s22, s86                                    // 000000004BF0: 80565616
	v_writelane_b32 v30, s86, 6                                // 000000004BF4: D28A001E 00010C56
	s_mov_b32 s22, s56                                         // 000000004BFC: BE960038
	s_cmp_eq_u32 s56, -1                                       // 000000004C00: BF06C138
	s_cselect_b32 s21, 1, 0                                    // 000000004C04: 85158081
	s_cbranch_scc0 label_0C13                                  // 000000004C08: BF840010
	s_add_u32 s94, s21, s94                                    // 000000004C0C: 805E5E15
	s_mov_b32 s22, s57                                         // 000000004C10: BE960039
	s_cmp_eq_u32 s57, -1                                       // 000000004C14: BF06C139
	s_cselect_b32 s21, 1, 0                                    // 000000004C18: 85158081
	s_cbranch_scc0 label_0C13                                  // 000000004C1C: BF84000B
	s_add_u32 s94, s21, s94                                    // 000000004C20: 805E5E15
	s_mov_b32 s22, s58                                         // 000000004C24: BE96003A
	s_cmp_eq_u32 s58, -1                                       // 000000004C28: BF06C13A
	s_cselect_b32 s21, 1, 0                                    // 000000004C2C: 85158081
	s_cbranch_scc0 label_0C13                                  // 000000004C30: BF840006
	s_add_u32 s94, s21, s94                                    // 000000004C34: 805E5E15
	s_mov_b32 s22, s59                                         // 000000004C38: BE96003B
	s_cmp_eq_u32 s59, -1                                       // 000000004C3C: BF06C13B
	s_cselect_b32 s21, 1, 0                                    // 000000004C40: 85158081
	s_cbranch_scc0 label_0C13                                  // 000000004C44: BF840001
	s_add_u32 s94, s21, s94                                    // 000000004C48: 805E5E15

0000000000004c4c <label_0C13>:
	s_set_gpr_idx_on s94, gpr_idx(DST)                         // 000000004C4C: BF11085E
	v_writelane_b32 v25, 0, s22                                // 000000004C50: D28A0019 00002C80
	s_set_gpr_idx_off                                          // 000000004C58: BF9C0000
	s_mul_i32 s94, 64, s94                                     // 000000004C5C: 925E5EC0
	s_add_u32 s94, s22, s94                                    // 000000004C60: 805E5E16
	v_writelane_b32 v31, s94, 6                                // 000000004C64: D28A001F 00010C5E
	v_max_f32_e32 v41, v17, v18                                // 000000004C6C: 16522511
	v_max3_f32 v41, v41, v19, v20                              // 000000004C70: D1D30029 04522729
	v_max_f32_e32 v42, v21, v22                                // 000000004C78: 16542D15
	v_max3_f32 v42, v42, v23, v24                              // 000000004C7C: D1D3002A 04622F2A
	v_max_f32_e32 v43, v25, v26                                // 000000004C84: 16563519
	v_max3_f32 v43, v43, v27, v28                              // 000000004C88: D1D3002B 0472372B
	v_max_f32_dpp v4, v41, v41 quad_perm:[1,0,3,2] row_mask:0xf bank_mask:0xf// 000000004C90: 160852FA FF00B129
	v_max_f32_dpp v5, v42, v42 quad_perm:[1,0,3,2] row_mask:0xf bank_mask:0xf// 000000004C98: 160A54FA FF00B12A
	v_max_f32_dpp v6, v43, v43 quad_perm:[1,0,3,2] row_mask:0xf bank_mask:0xf// 000000004CA0: 160C56FA FF00B12B
	v_max_f32_dpp v4, v4, v4 quad_perm:[2,3,0,1] row_mask:0xf bank_mask:0xf// 000000004CA8: 160808FA FF004E04
	v_max_f32_dpp v5, v5, v5 quad_perm:[2,3,0,1] row_mask:0xf bank_mask:0xf// 000000004CB0: 160A0AFA FF004E05
	v_max_f32_dpp v6, v6, v6 quad_perm:[2,3,0,1] row_mask:0xf bank_mask:0xf// 000000004CB8: 160C0CFA FF004E06
	v_max_f32_dpp v4, v4, v4 row_shr:4 row_mask:0xf bank_mask:0xf// 000000004CC0: 160808FA FF011404
	v_max_f32_dpp v5, v5, v5 row_shr:4 row_mask:0xf bank_mask:0xf// 000000004CC8: 160A0AFA FF011405
	v_max_f32_dpp v6, v6, v6 row_shr:4 row_mask:0xf bank_mask:0xf// 000000004CD0: 160C0CFA FF011406
	v_max_f32_dpp v4, v4, v4 row_shr:8 row_mask:0xf bank_mask:0xf// 000000004CD8: 160808FA FF011804
	v_max_f32_dpp v5, v5, v5 row_shr:8 row_mask:0xf bank_mask:0xf// 000000004CE0: 160A0AFA FF011805
	v_max_f32_dpp v6, v6, v6 row_shr:8 row_mask:0xf bank_mask:0xf// 000000004CE8: 160C0CFA FF011806
	v_max_f32_dpp v4, v4, v4 row_bcast:15 row_mask:0xf bank_mask:0xf// 000000004CF0: 160808FA FF014204
	v_max_f32_dpp v5, v5, v5 row_bcast:15 row_mask:0xf bank_mask:0xf// 000000004CF8: 160A0AFA FF014205
	v_max_f32_dpp v6, v6, v6 row_bcast:15 row_mask:0xf bank_mask:0xf// 000000004D00: 160C0CFA FF014206
	v_max_f32_dpp v4, v4, v4 row_bcast:31 row_mask:0xf bank_mask:0xf// 000000004D08: 160808FA FF014304
	v_max_f32_dpp v5, v5, v5 row_bcast:31 row_mask:0xf bank_mask:0xf// 000000004D10: 160A0AFA FF014305
	v_max_f32_dpp v6, v6, v6 row_bcast:31 row_mask:0xf bank_mask:0xf// 000000004D18: 160C0CFA FF014306
	v_readlane_b32 s20, v4, 63                                 // 000000004D20: D2890014 00017F04
	v_mov_b32_e32 v41, s20                                     // 000000004D28: 7E520214
	v_readlane_b32 s21, v5, 63                                 // 000000004D2C: D2890015 00017F05
	v_mov_b32_e32 v42, s21                                     // 000000004D34: 7E540215
	v_readlane_b32 s22, v6, 63                                 // 000000004D38: D2890016 00017F06
	v_mov_b32_e32 v43, s22                                     // 000000004D40: 7E560216
	v_add_f32_e32 v47, v47, v41                                // 000000004D44: 025E532F
	v_add_f32_e32 v48, v48, v42                                // 000000004D48: 02605530
	v_add_f32_e32 v49, v49, v43                                // 000000004D4C: 02625731
	v_cmp_eq_f32_e64 s[24:25], v41, v17                        // 000000004D50: D0420018 00022329
	v_cmp_eq_f32_e64 s[26:27], v41, v18                        // 000000004D58: D042001A 00022529
	v_cmp_eq_f32_e64 s[28:29], v41, v19                        // 000000004D60: D042001C 00022729
	v_cmp_eq_f32_e64 s[30:31], v41, v20                        // 000000004D68: D042001E 00022929
	s_ff1_i32_b64 s48, s[24:25]                                // 000000004D70: BEB01118
	s_ff1_i32_b64 s49, s[26:27]                                // 000000004D74: BEB1111A
	s_ff1_i32_b64 s50, s[28:29]                                // 000000004D78: BEB2111C
	s_ff1_i32_b64 s51, s[30:31]                                // 000000004D7C: BEB3111E
	v_cmp_eq_f32_e64 s[32:33], v42, v21                        // 000000004D80: D0420020 00022B2A
	v_cmp_eq_f32_e64 s[34:35], v42, v22                        // 000000004D88: D0420022 00022D2A
	v_cmp_eq_f32_e64 s[36:37], v42, v23                        // 000000004D90: D0420024 00022F2A
	v_cmp_eq_f32_e64 s[38:39], v42, v24                        // 000000004D98: D0420026 0002312A
	s_ff1_i32_b64 s52, s[32:33]                                // 000000004DA0: BEB41120
	s_ff1_i32_b64 s53, s[34:35]                                // 000000004DA4: BEB51122
	s_ff1_i32_b64 s54, s[36:37]                                // 000000004DA8: BEB61124
	s_ff1_i32_b64 s55, s[38:39]                                // 000000004DAC: BEB71126
	v_cmp_eq_f32_e64 s[40:41], v43, v25                        // 000000004DB0: D0420028 0002332B
	v_cmp_eq_f32_e64 s[42:43], v43, v26                        // 000000004DB8: D042002A 0002352B
	v_cmp_eq_f32_e64 s[44:45], v43, v27                        // 000000004DC0: D042002C 0002372B
	v_cmp_eq_f32_e64 s[46:47], v43, v28                        // 000000004DC8: D042002E 0002392B
	s_ff1_i32_b64 s56, s[40:41]                                // 000000004DD0: BEB81128
	s_ff1_i32_b64 s57, s[42:43]                                // 000000004DD4: BEB9112A
	s_ff1_i32_b64 s58, s[44:45]                                // 000000004DD8: BEBA112C
	s_ff1_i32_b64 s59, s[46:47]                                // 000000004DDC: BEBB112E
	v_readlane_b32 s20, v41, 0                                 // 000000004DE0: D2890014 00010129
	v_writelane_b32 v32, s20, 7                                // 000000004DE8: D28A0020 00010E14
	v_readlane_b32 s21, v42, 0                                 // 000000004DF0: D2890015 0001012A
	v_writelane_b32 v33, s21, 7                                // 000000004DF8: D28A0021 00010E15
	v_readlane_b32 s22, v43, 0                                 // 000000004E00: D2890016 0001012B
	v_writelane_b32 v34, s22, 7                                // 000000004E08: D28A0022 00010E16
	s_mov_b32 s22, s48                                         // 000000004E10: BE960030
	s_cmp_eq_u32 s48, -1                                       // 000000004E14: BF06C130
	s_cselect_b32 s21, 1, 0                                    // 000000004E18: 85158081
	s_cbranch_scc0 label_0C98                                  // 000000004E1C: BF840010
	s_add_u32 s79, s21, s79                                    // 000000004E20: 804F4F15
	s_mov_b32 s22, s49                                         // 000000004E24: BE960031
	s_cmp_eq_u32 s49, -1                                       // 000000004E28: BF06C131
	s_cselect_b32 s21, 1, 0                                    // 000000004E2C: 85158081
	s_cbranch_scc0 label_0C98                                  // 000000004E30: BF84000B
	s_add_u32 s79, s21, s79                                    // 000000004E34: 804F4F15
	s_mov_b32 s22, s50                                         // 000000004E38: BE960032
	s_cmp_eq_u32 s50, -1                                       // 000000004E3C: BF06C132
	s_cselect_b32 s21, 1, 0                                    // 000000004E40: 85158081
	s_cbranch_scc0 label_0C98                                  // 000000004E44: BF840006
	s_add_u32 s79, s21, s79                                    // 000000004E48: 804F4F15
	s_mov_b32 s22, s51                                         // 000000004E4C: BE960033
	s_cmp_eq_u32 s51, -1                                       // 000000004E50: BF06C133
	s_cselect_b32 s21, 1, 0                                    // 000000004E54: 85158081
	s_cbranch_scc0 label_0C98                                  // 000000004E58: BF840001
	s_add_u32 s79, s21, s79                                    // 000000004E5C: 804F4F15

0000000000004e60 <label_0C98>:
	s_set_gpr_idx_on s79, gpr_idx(DST)                         // 000000004E60: BF11084F
	v_writelane_b32 v17, 0, s22                                // 000000004E64: D28A0011 00002C80
	s_set_gpr_idx_off                                          // 000000004E6C: BF9C0000
	s_mul_i32 s79, 64, s79                                     // 000000004E70: 924F4FC0
	s_add_u32 s79, s22, s79                                    // 000000004E74: 804F4F16
	v_writelane_b32 v29, s79, 7                                // 000000004E78: D28A001D 00010E4F
	s_mov_b32 s22, s52                                         // 000000004E80: BE960034
	s_cmp_eq_u32 s52, -1                                       // 000000004E84: BF06C134
	s_cselect_b32 s21, 1, 0                                    // 000000004E88: 85158081
	s_cbranch_scc0 label_0CB4                                  // 000000004E8C: BF840010
	s_add_u32 s87, s21, s87                                    // 000000004E90: 80575715
	s_mov_b32 s22, s53                                         // 000000004E94: BE960035
	s_cmp_eq_u32 s53, -1                                       // 000000004E98: BF06C135
	s_cselect_b32 s21, 1, 0                                    // 000000004E9C: 85158081
	s_cbranch_scc0 label_0CB4                                  // 000000004EA0: BF84000B
	s_add_u32 s87, s21, s87                                    // 000000004EA4: 80575715
	s_mov_b32 s22, s54                                         // 000000004EA8: BE960036
	s_cmp_eq_u32 s54, -1                                       // 000000004EAC: BF06C136
	s_cselect_b32 s21, 1, 0                                    // 000000004EB0: 85158081
	s_cbranch_scc0 label_0CB4                                  // 000000004EB4: BF840006
	s_add_u32 s87, s21, s87                                    // 000000004EB8: 80575715
	s_mov_b32 s22, s55                                         // 000000004EBC: BE960037
	s_cmp_eq_u32 s55, -1                                       // 000000004EC0: BF06C137
	s_cselect_b32 s21, 1, 0                                    // 000000004EC4: 85158081
	s_cbranch_scc0 label_0CB4                                  // 000000004EC8: BF840001
	s_add_u32 s87, s21, s87                                    // 000000004ECC: 80575715

0000000000004ed0 <label_0CB4>:
	s_set_gpr_idx_on s87, gpr_idx(DST)                         // 000000004ED0: BF110857
	v_writelane_b32 v21, 0, s22                                // 000000004ED4: D28A0015 00002C80
	s_set_gpr_idx_off                                          // 000000004EDC: BF9C0000
	s_mul_i32 s87, 64, s87                                     // 000000004EE0: 925757C0
	s_add_u32 s87, s22, s87                                    // 000000004EE4: 80575716
	v_writelane_b32 v30, s87, 7                                // 000000004EE8: D28A001E 00010E57
	s_mov_b32 s22, s56                                         // 000000004EF0: BE960038
	s_cmp_eq_u32 s56, -1                                       // 000000004EF4: BF06C138
	s_cselect_b32 s21, 1, 0                                    // 000000004EF8: 85158081
	s_cbranch_scc0 label_0CD0                                  // 000000004EFC: BF840010
	s_add_u32 s95, s21, s95                                    // 000000004F00: 805F5F15
	s_mov_b32 s22, s57                                         // 000000004F04: BE960039
	s_cmp_eq_u32 s57, -1                                       // 000000004F08: BF06C139
	s_cselect_b32 s21, 1, 0                                    // 000000004F0C: 85158081
	s_cbranch_scc0 label_0CD0                                  // 000000004F10: BF84000B
	s_add_u32 s95, s21, s95                                    // 000000004F14: 805F5F15
	s_mov_b32 s22, s58                                         // 000000004F18: BE96003A
	s_cmp_eq_u32 s58, -1                                       // 000000004F1C: BF06C13A
	s_cselect_b32 s21, 1, 0                                    // 000000004F20: 85158081
	s_cbranch_scc0 label_0CD0                                  // 000000004F24: BF840006
	s_add_u32 s95, s21, s95                                    // 000000004F28: 805F5F15
	s_mov_b32 s22, s59                                         // 000000004F2C: BE96003B
	s_cmp_eq_u32 s59, -1                                       // 000000004F30: BF06C13B
	s_cselect_b32 s21, 1, 0                                    // 000000004F34: 85158081
	s_cbranch_scc0 label_0CD0                                  // 000000004F38: BF840001
	s_add_u32 s95, s21, s95                                    // 000000004F3C: 805F5F15

0000000000004f40 <label_0CD0>:
	s_set_gpr_idx_on s95, gpr_idx(DST)                         // 000000004F40: BF11085F
	v_writelane_b32 v25, 0, s22                                // 000000004F44: D28A0019 00002C80
	s_set_gpr_idx_off                                          // 000000004F4C: BF9C0000
	s_mul_i32 s95, 64, s95                                     // 000000004F50: 925F5FC0
	s_add_u32 s95, s22, s95                                    // 000000004F54: 805F5F16
	v_writelane_b32 v31, s95, 7                                // 000000004F58: D28A001F 00010E5F
	s_bfm_b64 exec, s18, 0                                     // 000000004F60: 91FE8012
	buffer_store_dword v29, v11, s[4:7], 0 offen               // 000000004F64: E0701000 80011D0B
	buffer_store_dword v30, v12, s[4:7], 0 offen               // 000000004F6C: E0701000 80011E0C
	buffer_store_dword v31, v13, s[4:7], 0 offen               // 000000004F74: E0701000 80011F0D
	v_rcp_f32_e32 v47, v47                                     // 000000004F7C: 7E5E452F
	v_rcp_f32_e32 v48, v48                                     // 000000004F80: 7E604530
	v_rcp_f32_e32 v49, v49                                     // 000000004F84: 7E624531
	v_mul_f32_e32 v32, v32, v47                                // 000000004F88: 0A405F20
	v_mul_f32_e32 v33, v33, v48                                // 000000004F8C: 0A426121
	v_mul_f32_e32 v34, v34, v49                                // 000000004F90: 0A446322
	buffer_store_dword v32, v14, s[8:11], 0 offen              // 000000004F94: E0701000 8002200E
	buffer_store_dword v33, v15, s[8:11], 0 offen              // 000000004F9C: E0701000 8002210F
	buffer_store_dword v34, v16, s[8:11], 0 offen              // 000000004FA4: E0701000 80022210

0000000000004fac <label_0CEB>:
	s_waitcnt vmcnt(0) expcnt(0) lgkmcnt(0)                    // 000000004FAC: BF8C0000
	s_endpgm                                                   // 000000004FB0: BF810000
